;; amdgpu-corpus repo=ROCm/rocFFT kind=compiled arch=gfx1201 opt=O3
	.text
	.amdgcn_target "amdgcn-amd-amdhsa--gfx1201"
	.amdhsa_code_object_version 6
	.protected	bluestein_single_fwd_len1260_dim1_dp_op_CI_CI ; -- Begin function bluestein_single_fwd_len1260_dim1_dp_op_CI_CI
	.globl	bluestein_single_fwd_len1260_dim1_dp_op_CI_CI
	.p2align	8
	.type	bluestein_single_fwd_len1260_dim1_dp_op_CI_CI,@function
bluestein_single_fwd_len1260_dim1_dp_op_CI_CI: ; @bluestein_single_fwd_len1260_dim1_dp_op_CI_CI
; %bb.0:
	s_load_b128 s[16:19], s[0:1], 0x28
	v_mul_u32_u24_e32 v1, 0x411, v0
	s_mov_b32 s2, exec_lo
	v_mov_b32_e32 v203, 0
	s_delay_alu instid0(VALU_DEP_2) | instskip(NEXT) | instid1(VALU_DEP_1)
	v_lshrrev_b32_e32 v1, 16, v1
	v_add_nc_u32_e32 v202, ttmp9, v1
	s_wait_kmcnt 0x0
	s_delay_alu instid0(VALU_DEP_1)
	v_cmpx_gt_u64_e64 s[16:17], v[202:203]
	s_cbranch_execz .LBB0_26
; %bb.1:
	s_clause 0x1
	s_load_b128 s[4:7], s[0:1], 0x18
	s_load_b128 s[8:11], s[0:1], 0x0
	v_mul_lo_u16 v1, v1, 63
	s_movk_i32 s2, 0xdc90
	s_mov_b32 s3, -1
	s_delay_alu instid0(VALU_DEP_1) | instskip(NEXT) | instid1(VALU_DEP_1)
	v_sub_nc_u16 v56, v0, v1
	v_and_b32_e32 v175, 0xffff, v56
	s_wait_kmcnt 0x0
	s_load_b128 s[12:15], s[4:5], 0x0
	s_wait_kmcnt 0x0
	v_mad_co_u64_u32 v[0:1], null, s14, v202, 0
	v_mad_co_u64_u32 v[2:3], null, s12, v175, 0
	s_mul_u64 s[4:5], s[12:13], 0x2760
	s_mul_u64 s[2:3], s[12:13], s[2:3]
	s_delay_alu instid0(VALU_DEP_1) | instskip(NEXT) | instid1(VALU_DEP_1)
	v_mad_co_u64_u32 v[4:5], null, s15, v202, v[1:2]
	v_dual_mov_b32 v1, v4 :: v_dual_lshlrev_b32 v174, 4, v175
	s_delay_alu instid0(VALU_DEP_3)
	v_mad_co_u64_u32 v[5:6], null, s13, v175, v[3:4]
	s_clause 0x5
	global_load_b128 v[113:116], v174, s[8:9]
	global_load_b128 v[165:168], v174, s[8:9] offset:1008
	global_load_b128 v[169:172], v174, s[8:9] offset:10080
	;; [unrolled: 1-line block ×5, first 2 shown]
	v_lshlrev_b64_e32 v[0:1], 4, v[0:1]
	s_clause 0x9
	global_load_b128 v[161:164], v174, s[8:9] offset:12096
	global_load_b128 v[176:179], v174, s[8:9] offset:13104
	;; [unrolled: 1-line block ×10, first 2 shown]
	v_mov_b32_e32 v3, v5
	s_clause 0x1
	global_load_b128 v[223:226], v174, s[8:9] offset:8064
	global_load_b128 v[227:230], v174, s[8:9] offset:18144
	v_add_co_u32 v0, vcc_lo, s18, v0
	v_lshlrev_b64_e32 v[2:3], 4, v[2:3]
	v_add_co_ci_u32_e32 v1, vcc_lo, s19, v1, vcc_lo
	s_delay_alu instid0(VALU_DEP_2) | instskip(SKIP_1) | instid1(VALU_DEP_2)
	v_add_co_u32 v0, vcc_lo, v0, v2
	s_wait_alu 0xfffd
	v_add_co_ci_u32_e32 v1, vcc_lo, v1, v3, vcc_lo
	s_delay_alu instid0(VALU_DEP_2) | instskip(SKIP_1) | instid1(VALU_DEP_2)
	v_add_co_u32 v4, vcc_lo, v0, s4
	s_wait_alu 0xfffd
	;; [unrolled: 4-line block ×3, first 2 shown]
	v_add_co_ci_u32_e32 v9, vcc_lo, s3, v5, vcc_lo
	s_clause 0x1
	global_load_b128 v[0:3], v[0:1], off
	global_load_b128 v[4:7], v[4:5], off
	v_add_co_u32 v12, vcc_lo, v8, s4
	s_wait_alu 0xfffd
	v_add_co_ci_u32_e32 v13, vcc_lo, s5, v9, vcc_lo
	s_delay_alu instid0(VALU_DEP_2) | instskip(SKIP_1) | instid1(VALU_DEP_2)
	v_add_co_u32 v16, vcc_lo, v12, s2
	s_wait_alu 0xfffd
	v_add_co_ci_u32_e32 v17, vcc_lo, s3, v13, vcc_lo
	s_clause 0x1
	global_load_b128 v[8:11], v[8:9], off
	global_load_b128 v[12:15], v[12:13], off
	v_add_co_u32 v20, vcc_lo, v16, s4
	s_wait_alu 0xfffd
	v_add_co_ci_u32_e32 v21, vcc_lo, s5, v17, vcc_lo
	global_load_b128 v[16:19], v[16:17], off
	v_add_co_u32 v24, vcc_lo, v20, s2
	s_wait_alu 0xfffd
	v_add_co_ci_u32_e32 v25, vcc_lo, s3, v21, vcc_lo
	;; [unrolled: 4-line block ×14, first 2 shown]
	s_delay_alu instid0(VALU_DEP_2) | instskip(SKIP_1) | instid1(VALU_DEP_2)
	v_add_co_u32 v77, vcc_lo, v73, s4
	s_wait_alu 0xfffd
	v_add_co_ci_u32_e32 v78, vcc_lo, s5, v74, vcc_lo
	global_load_b128 v[69:72], v[69:70], off
	global_load_b128 v[231:234], v174, s[8:9] offset:9072
	global_load_b128 v[73:76], v[73:74], off
	global_load_b128 v[235:238], v174, s[8:9] offset:19152
	global_load_b128 v[77:80], v[77:78], off
	s_load_b128 s[4:7], s[6:7], 0x0
	v_cmp_gt_u16_e32 vcc_lo, 42, v56
	s_wait_loadcnt 0x27
	scratch_store_b128 off, v[113:116], off ; 16-byte Folded Spill
	s_wait_loadcnt 0x26
	scratch_store_b128 off, v[165:168], off offset:48 ; 16-byte Folded Spill
	s_wait_loadcnt 0x25
	scratch_store_b128 off, v[169:172], off offset:64 ; 16-byte Folded Spill
	;; [unrolled: 2-line block ×3, first 2 shown]
	s_wait_loadcnt 0x1d
	s_clause 0x1
	scratch_store_b128 off, v[192:195], off offset:144
	scratch_store_b128 off, v[203:206], off offset:176
	s_wait_loadcnt 0x1c
	s_clause 0x5
	scratch_store_b128 off, v[196:199], off offset:160
	scratch_store_b128 off, v[161:164], off offset:32
	;; [unrolled: 1-line block ×6, first 2 shown]
	s_wait_loadcnt 0x1b
	scratch_store_b128 off, v[207:210], off offset:192 ; 16-byte Folded Spill
	s_wait_loadcnt 0x1a
	scratch_store_b128 off, v[211:214], off offset:208 ; 16-byte Folded Spill
	;; [unrolled: 2-line block ×6, first 2 shown]
	s_wait_loadcnt 0x15
	v_mul_f64_e32 v[81:82], v[2:3], v[115:116]
	v_mul_f64_e32 v[83:84], v[0:1], v[115:116]
	s_wait_loadcnt 0x14
	v_mul_f64_e32 v[85:86], v[6:7], v[171:172]
	v_mul_f64_e32 v[87:88], v[4:5], v[171:172]
	;; [unrolled: 3-line block ×8, first 2 shown]
	v_fma_f64 v[0:1], v[0:1], v[113:114], v[81:82]
	v_fma_f64 v[2:3], v[2:3], v[113:114], -v[83:84]
	s_wait_loadcnt 0xd
	v_mul_f64_e32 v[81:82], v[34:35], v[186:187]
	v_mul_f64_e32 v[83:84], v[32:33], v[186:187]
	s_wait_loadcnt 0xc
	v_mul_f64_e32 v[113:114], v[38:39], v[194:195]
	v_mul_f64_e32 v[115:116], v[36:37], v[194:195]
	v_fma_f64 v[4:5], v[4:5], v[169:170], v[85:86]
	v_fma_f64 v[6:7], v[6:7], v[169:170], -v[87:88]
	s_wait_loadcnt 0xb
	v_mul_f64_e32 v[117:118], v[42:43], v[182:183]
	v_mul_f64_e32 v[119:120], v[40:41], v[182:183]
	v_fma_f64 v[8:9], v[8:9], v[165:166], v[89:90]
	v_fma_f64 v[10:11], v[10:11], v[165:166], -v[91:92]
	v_fma_f64 v[12:13], v[12:13], v[188:189], v[93:94]
	s_wait_loadcnt 0xa
	v_mul_f64_e32 v[121:122], v[46:47], v[198:199]
	v_mul_f64_e32 v[123:124], v[44:45], v[198:199]
	v_fma_f64 v[14:15], v[14:15], v[188:189], -v[95:96]
	v_fma_f64 v[16:17], v[16:17], v[203:204], v[97:98]
	v_fma_f64 v[18:19], v[18:19], v[203:204], -v[99:100]
	s_wait_loadcnt 0x9
	v_mul_f64_e32 v[125:126], v[50:51], v[209:210]
	v_mul_f64_e32 v[127:128], v[48:49], v[209:210]
	v_add_co_u32 v92, s2, v175, 63
	v_fma_f64 v[20:21], v[20:21], v[161:162], v[101:102]
	s_wait_loadcnt 0x8
	v_mul_f64_e32 v[129:130], v[54:55], v[217:218]
	v_mul_f64_e32 v[131:132], v[52:53], v[217:218]
	v_fma_f64 v[22:23], v[22:23], v[161:162], -v[103:104]
	v_fma_f64 v[24:25], v[24:25], v[157:158], v[105:106]
	v_fma_f64 v[26:27], v[26:27], v[157:158], -v[107:108]
	s_wait_loadcnt 0x7
	v_mul_f64_e32 v[133:134], v[59:60], v[213:214]
	v_mul_f64_e32 v[135:136], v[57:58], v[213:214]
	v_add_co_u32 v93, null, 0x17a, v175
	v_fma_f64 v[28:29], v[28:29], v[176:177], v[109:110]
	s_wait_loadcnt 0x6
	v_mul_f64_e32 v[137:138], v[63:64], v[221:222]
	v_mul_f64_e32 v[139:140], v[61:62], v[221:222]
	v_fma_f64 v[30:31], v[30:31], v[176:177], -v[111:112]
	v_lshlrev_b32_e32 v87, 5, v175
	v_lshlrev_b32_e32 v100, 5, v92
	s_wait_loadcnt 0x5
	v_mul_f64_e32 v[141:142], v[67:68], v[225:226]
	v_mul_f64_e32 v[143:144], v[65:66], v[225:226]
	v_fma_f64 v[32:33], v[32:33], v[184:185], v[81:82]
	v_fma_f64 v[34:35], v[34:35], v[184:185], -v[83:84]
	v_fma_f64 v[36:37], v[36:37], v[192:193], v[113:114]
	v_fma_f64 v[38:39], v[38:39], v[192:193], -v[115:116]
	s_wait_loadcnt 0x4
	v_mul_f64_e32 v[145:146], v[71:72], v[229:230]
	v_mul_f64_e32 v[147:148], v[69:70], v[229:230]
	s_wait_loadcnt 0x2
	v_mul_f64_e32 v[149:150], v[75:76], v[233:234]
	v_mul_f64_e32 v[151:152], v[73:74], v[233:234]
	;; [unrolled: 3-line block ×3, first 2 shown]
	v_fma_f64 v[40:41], v[40:41], v[180:181], v[117:118]
	v_fma_f64 v[42:43], v[42:43], v[180:181], -v[119:120]
	v_fma_f64 v[44:45], v[44:45], v[196:197], v[121:122]
	v_fma_f64 v[46:47], v[46:47], v[196:197], -v[123:124]
	s_clause 0x1
	scratch_store_b128 off, v[231:234], off offset:288
	scratch_store_b128 off, v[235:238], off offset:304
	v_fma_f64 v[48:49], v[48:49], v[207:208], v[125:126]
	v_fma_f64 v[50:51], v[50:51], v[207:208], -v[127:128]
	s_wait_alu 0xf1ff
	v_add_co_ci_u32_e64 v81, null, 0, 0, s2
	v_add_co_u32 v122, s2, 0x7e, v175
	v_fma_f64 v[52:53], v[52:53], v[215:216], v[129:130]
	v_fma_f64 v[54:55], v[54:55], v[215:216], -v[131:132]
	s_wait_alu 0xf1ff
	v_add_co_ci_u32_e64 v81, null, 0, 0, s2
	v_fma_f64 v[57:58], v[57:58], v[211:212], v[133:134]
	v_fma_f64 v[59:60], v[59:60], v[211:212], -v[135:136]
	v_add_co_u32 v106, s2, 0xbd, v175
	v_lshlrev_b32_e32 v101, 5, v122
	v_fma_f64 v[61:62], v[61:62], v[219:220], v[137:138]
	v_fma_f64 v[63:64], v[63:64], v[219:220], -v[139:140]
	s_delay_alu instid0(VALU_DEP_4)
	v_and_b32_e32 v132, 1, v106
	v_lshlrev_b32_e32 v99, 5, v106
	v_lshlrev_b32_e32 v91, 5, v93
	v_fma_f64 v[65:66], v[65:66], v[223:224], v[141:142]
	v_fma_f64 v[67:68], v[67:68], v[223:224], -v[143:144]
	v_and_b32_e32 v134, 1, v92
	v_fma_f64 v[69:70], v[69:70], v[227:228], v[145:146]
	v_fma_f64 v[71:72], v[71:72], v[227:228], -v[147:148]
	v_fma_f64 v[73:74], v[73:74], v[231:232], v[149:150]
	v_fma_f64 v[75:76], v[75:76], v[231:232], -v[151:152]
	;; [unrolled: 2-line block ×3, first 2 shown]
	ds_store_b128 v174, v[0:3]
	ds_store_b128 v174, v[8:11] offset:1008
	ds_store_b128 v174, v[4:7] offset:10080
	;; [unrolled: 1-line block ×19, first 2 shown]
	global_wb scope:SCOPE_SE
	s_wait_storecnt_dscnt 0x0
	s_wait_kmcnt 0x0
	s_barrier_signal -1
	s_barrier_wait -1
	global_inv scope:SCOPE_SE
	ds_load_b128 v[0:3], v174
	ds_load_b128 v[4:7], v174 offset:1008
	ds_load_b128 v[28:31], v174 offset:10080
	;; [unrolled: 1-line block ×19, first 2 shown]
	global_wb scope:SCOPE_SE
	s_wait_dscnt 0x0
	s_barrier_signal -1
	v_add_f64_e64 v[28:29], v[0:1], -v[28:29]
	v_add_f64_e64 v[30:31], v[2:3], -v[30:31]
	;; [unrolled: 1-line block ×20, first 2 shown]
	s_wait_alu 0xf1ff
	v_add_co_ci_u32_e64 v40, null, 0, 0, s2
	v_add_co_u32 v95, s2, 0xfc, v175
	v_lshlrev_b32_e32 v42, 1, v175
	s_wait_alu 0xf1ff
	v_add_co_ci_u32_e64 v40, null, 0, 0, s2
	v_add_co_u32 v94, s2, 0x13b, v175
	s_wait_alu 0xf1ff
	v_add_co_ci_u32_e64 v40, null, 0, 0, s2
	v_add_nc_u32_e32 v41, 0x237, v175
	v_add_nc_u32_e32 v40, 0x1b9, v175
	v_and_b32_e32 v55, 1, v175
	v_add_nc_u32_e32 v121, 0x3f0, v42
	v_and_b32_e32 v133, 1, v94
	v_and_b32_e32 v131, 1, v41
	v_lshlrev_b32_e32 v98, 5, v95
	v_fma_f64 v[0:1], v[0:1], 2.0, -v[28:29]
	v_fma_f64 v[2:3], v[2:3], 2.0, -v[30:31]
	;; [unrolled: 1-line block ×20, first 2 shown]
	v_lshlrev_b32_e32 v96, 5, v94
	v_lshlrev_b32_e32 v90, 5, v40
	;; [unrolled: 1-line block ×5, first 2 shown]
	s_barrier_wait -1
	global_inv scope:SCOPE_SE
	v_lshlrev_b32_e32 v85, 4, v42
	ds_store_b128 v87, v[0:3]
	ds_store_b128 v87, v[28:31] offset:16
	ds_store_b128 v100, v[4:7]
	scratch_store_b32 off, v100, off offset:628 ; 4-byte Folded Spill
	ds_store_b128 v100, v[32:35] offset:16
	ds_store_b128 v101, v[8:11]
	scratch_store_b32 off, v101, off offset:636 ; 4-byte Folded Spill
	ds_store_b128 v101, v[81:84] offset:16
	ds_store_b128 v99, v[12:15]
	v_lshlrev_b32_e32 v0, 4, v132
	v_and_b32_e32 v83, 1, v40
	v_lshlrev_b32_e32 v88, 4, v131
	v_lshlrev_b32_e32 v1, 4, v133
	scratch_store_b32 off, v99, off offset:624 ; 4-byte Folded Spill
	ds_store_b128 v99, v[43:46] offset:16
	ds_store_b128 v98, v[16:19]
	scratch_store_b32 off, v98, off offset:620 ; 4-byte Folded Spill
	ds_store_b128 v98, v[47:50] offset:16
	ds_store_b128 v96, v[20:23]
	;; [unrolled: 3-line block ×3, first 2 shown]
	scratch_store_b32 off, v91, off offset:608 ; 4-byte Folded Spill
	ds_store_b128 v91, v[57:60] offset:16
	ds_store_b128 v87, v[36:39] offset:14112
	scratch_store_b32 off, v90, off offset:556 ; 4-byte Folded Spill
	ds_store_b128 v90, v[61:64] offset:16
	ds_store_b128 v85, v[65:68] offset:16128
	;; [unrolled: 3-line block ×3, first 2 shown]
	scratch_store_b32 off, v89, off offset:552 ; 4-byte Folded Spill
	ds_store_b128 v89, v[77:80] offset:16
	global_wb scope:SCOPE_SE
	s_wait_storecnt_dscnt 0x0
	s_barrier_signal -1
	s_barrier_wait -1
	global_inv scope:SCOPE_SE
	s_clause 0x1
	global_load_b128 v[84:87], v86, s[10:11]
	global_load_b128 v[109:112], v0, s[10:11]
	v_lshlrev_b32_e32 v0, 4, v83
	s_clause 0x3
	global_load_b128 v[135:138], v88, s[10:11]
	global_load_b128 v[117:120], v1, s[10:11]
	;; [unrolled: 1-line block ×3, first 2 shown]
	global_load_b64 v[88:89], v88, s[10:11] offset:8
	v_lshlrev_b32_e32 v0, 4, v134
	v_and_or_b32 v42, 0x7c, v42, v55
	v_lshlrev_b32_e32 v40, 1, v40
	v_lshlrev_b32_e32 v41, 1, v41
	s_load_b64 s[2:3], s[0:1], 0x38
	global_load_b64 v[100:101], v0, s[10:11]
	ds_load_b128 v[0:3], v174 offset:10080
	ds_load_b128 v[4:7], v174 offset:11088
	;; [unrolled: 1-line block ×10, first 2 shown]
	v_and_or_b32 v40, 0x3fc, v40, v83
	v_and_or_b32 v41, 0x4fc, v41, v131
	s_wait_loadcnt_dscnt 0x609
	v_mul_f64_e32 v[43:44], v[2:3], v[86:87]
	v_mul_f64_e32 v[45:46], v[0:1], v[86:87]
	s_wait_dscnt 0x7
	v_mul_f64_e32 v[51:52], v[10:11], v[86:87]
	s_wait_loadcnt 0x4
	v_mul_f64_e32 v[47:48], v[6:7], v[137:138]
	v_mul_f64_e32 v[49:50], v[4:5], v[137:138]
	;; [unrolled: 1-line block ×3, first 2 shown]
	s_wait_dscnt 0x6
	v_mul_f64_e32 v[57:58], v[14:15], v[111:112]
	v_mul_f64_e32 v[59:60], v[12:13], v[111:112]
	s_wait_dscnt 0x5
	v_mul_f64_e32 v[61:62], v[18:19], v[86:87]
	v_mul_f64_e32 v[63:64], v[16:17], v[86:87]
	s_wait_loadcnt_dscnt 0x304
	v_mul_f64_e32 v[65:66], v[22:23], v[119:120]
	v_mul_f64_e32 v[67:68], v[20:21], v[119:120]
	s_wait_dscnt 0x3
	v_mul_f64_e32 v[69:70], v[26:27], v[86:87]
	v_mul_f64_e32 v[71:72], v[24:25], v[86:87]
	s_wait_loadcnt_dscnt 0x202
	;; [unrolled: 6-line block ×3, first 2 shown]
	v_mul_f64_e32 v[81:82], v[38:39], v[88:89]
	s_clause 0x1
	scratch_store_b64 off, v[88:89], off offset:344
	scratch_store_b128 off, v[135:138], off offset:320
	v_mul_f64_e32 v[88:89], v[36:37], v[88:89]
	s_wait_loadcnt 0x0
	s_clause 0x3
	scratch_store_b64 off, v[100:101], off offset:356
	scratch_store_b128 off, v[125:128], off offset:372
	scratch_store_b128 off, v[109:112], off offset:412
	;; [unrolled: 1-line block ×3, first 2 shown]
	v_fma_f64 v[90:91], v[0:1], v[84:85], -v[43:44]
	v_fma_f64 v[96:97], v[2:3], v[84:85], v[45:46]
	v_fma_f64 v[102:103], v[8:9], v[84:85], -v[51:52]
	v_fma_f64 v[98:99], v[4:5], v[100:101], -v[47:48]
	v_fma_f64 v[100:101], v[6:7], v[100:101], v[49:50]
	v_fma_f64 v[104:105], v[10:11], v[84:85], v[53:54]
	v_fma_f64 v[107:108], v[12:13], v[109:110], -v[57:58]
	v_fma_f64 v[109:110], v[14:15], v[109:110], v[59:60]
	v_fma_f64 v[111:112], v[16:17], v[84:85], -v[61:62]
	;; [unrolled: 2-line block ×7, first 2 shown]
	ds_load_b128 v[0:3], v174
	v_fma_f64 v[129:130], v[38:39], v[135:136], v[88:89]
	ds_load_b128 v[4:7], v174 offset:1008
	ds_load_b128 v[8:11], v174 offset:2016
	ds_load_b128 v[12:15], v174 offset:3024
	ds_load_b128 v[16:19], v174 offset:4032
	ds_load_b128 v[20:23], v174 offset:5040
	ds_load_b128 v[24:27], v174 offset:6048
	ds_load_b128 v[32:35], v174 offset:7056
	ds_load_b128 v[36:39], v174 offset:8064
	ds_load_b128 v[43:46], v174 offset:9072
	global_wb scope:SCOPE_SE
	s_wait_storecnt_dscnt 0x0
	s_wait_kmcnt 0x0
	s_barrier_signal -1
	s_barrier_wait -1
	global_inv scope:SCOPE_SE
	v_add_f64_e64 v[47:48], v[0:1], -v[90:91]
	v_add_f64_e64 v[49:50], v[2:3], -v[96:97]
	;; [unrolled: 1-line block ×19, first 2 shown]
	v_lshlrev_b32_e32 v81, 1, v92
	v_add_f64_e64 v[30:31], v[45:46], -v[129:130]
	v_lshlrev_b32_e32 v82, 1, v122
	v_lshlrev_b32_e32 v96, 1, v106
	;; [unrolled: 1-line block ×3, first 2 shown]
	v_and_or_b32 v42, 0xfc, v81, v134
	v_lshlrev_b32_e32 v100, 1, v95
	v_and_or_b32 v81, 0x1fc, v82, v55
	v_and_or_b32 v82, 0x1fc, v96, v132
	v_lshlrev_b32_e32 v101, 1, v94
	v_lshlrev_b32_e32 v102, 1, v93
	scratch_store_b32 off, v103, off offset:336 ; 4-byte Folded Spill
	v_lshlrev_b32_e32 v83, 4, v81
	v_lshlrev_b32_e32 v82, 4, v82
	v_fma_f64 v[96:97], v[0:1], 2.0, -v[47:48]
	v_fma_f64 v[98:99], v[2:3], 2.0, -v[49:50]
	;; [unrolled: 1-line block ×19, first 2 shown]
	v_and_or_b32 v43, 0x3fc, v100, v55
	v_fma_f64 v[2:3], v[45:46], 2.0, -v[30:31]
	v_and_or_b32 v44, 0x2fc, v101, v133
	v_and_or_b32 v45, 0x3fc, v102, v55
	;; [unrolled: 1-line block ×3, first 2 shown]
	v_lshlrev_b32_e32 v100, 4, v42
	v_lshlrev_b32_e32 v81, 4, v43
	;; [unrolled: 1-line block ×7, first 2 shown]
	ds_store_b128 v103, v[96:99]
	ds_store_b128 v103, v[47:50] offset:32
	ds_store_b128 v100, v[4:7]
	scratch_store_b32 off, v100, off offset:436 ; 4-byte Folded Spill
	ds_store_b128 v100, v[51:54] offset:32
	ds_store_b128 v83, v[8:11]
	scratch_store_b32 off, v83, off offset:432 ; 4-byte Folded Spill
	;; [unrolled: 3-line block ×9, first 2 shown]
	ds_store_b128 v40, v[28:31] offset:32
	global_wb scope:SCOPE_SE
	s_wait_storecnt_dscnt 0x0
	s_barrier_signal -1
	s_barrier_wait -1
	global_inv scope:SCOPE_SE
	ds_load_b128 v[24:27], v174
	ds_load_b128 v[20:23], v174 offset:1008
	ds_load_b128 v[80:83], v174 offset:6720
	;; [unrolled: 1-line block ×17, first 2 shown]
                                        ; implicit-def: $vgpr56_vgpr57
	s_and_saveexec_b32 s0, vcc_lo
	s_cbranch_execz .LBB0_3
; %bb.2:
	ds_load_b128 v[0:3], v174 offset:6048
	ds_load_b128 v[28:31], v174 offset:12768
	;; [unrolled: 1-line block ×3, first 2 shown]
.LBB0_3:
	s_wait_alu 0xfffe
	s_or_b32 exec_lo, exec_lo, s0
	v_and_b32_e32 v96, 3, v175
	v_and_b32_e32 v203, 3, v93
	s_mov_b32 s0, 0xe8584caa
	s_mov_b32 s1, 0x3febb67a
	;; [unrolled: 1-line block ×3, first 2 shown]
	v_lshlrev_b32_e32 v99, 5, v96
	v_lshlrev_b32_e32 v111, 5, v203
	s_wait_alu 0xfffe
	s_mov_b32 s12, s0
	s_clause 0x1
	global_load_b128 v[88:91], v99, s[10:11] offset:32
	global_load_b128 v[112:115], v99, s[10:11] offset:48
	s_wait_loadcnt_dscnt 0x10f
	v_mul_f64_e32 v[97:98], v[82:83], v[90:91]
	s_delay_alu instid0(VALU_DEP_1) | instskip(SKIP_1) | instid1(VALU_DEP_1)
	v_fma_f64 v[97:98], v[80:81], v[88:89], -v[97:98]
	v_mul_f64_e32 v[80:81], v[80:81], v[90:91]
	v_fma_f64 v[80:81], v[82:83], v[88:89], v[80:81]
	s_wait_loadcnt_dscnt 0xd
	v_mul_f64_e32 v[82:83], v[78:79], v[114:115]
	s_delay_alu instid0(VALU_DEP_1) | instskip(SKIP_1) | instid1(VALU_DEP_1)
	v_fma_f64 v[82:83], v[76:77], v[112:113], -v[82:83]
	v_mul_f64_e32 v[76:77], v[76:77], v[114:115]
	v_fma_f64 v[78:79], v[78:79], v[112:113], v[76:77]
	v_and_b32_e32 v77, 3, v92
	v_and_b32_e32 v76, 3, v94
	s_delay_alu instid0(VALU_DEP_2) | instskip(NEXT) | instid1(VALU_DEP_2)
	v_lshlrev_b32_e32 v99, 5, v77
	v_lshlrev_b32_e32 v105, 5, v76
	s_clause 0x3
	global_load_b64 v[101:102], v99, s[10:11] offset:32
	global_load_b128 v[129:132], v105, s[10:11] offset:32
	global_load_b128 v[149:152], v105, s[10:11] offset:48
	;; [unrolled: 1-line block ×3, first 2 shown]
	s_wait_loadcnt 0x3
	scratch_store_b64 off, v[101:102], off offset:448 ; 8-byte Folded Spill
	s_wait_loadcnt 0x2
	v_mul_f64_e32 v[99:100], v[74:75], v[131:132]
	s_delay_alu instid0(VALU_DEP_1) | instskip(SKIP_1) | instid1(VALU_DEP_1)
	v_fma_f64 v[99:100], v[72:73], v[101:102], -v[99:100]
	v_mul_f64_e32 v[72:73], v[72:73], v[131:132]
	v_fma_f64 v[72:73], v[74:75], v[101:102], v[72:73]
	s_wait_loadcnt_dscnt 0x10c
	v_mul_f64_e32 v[74:75], v[70:71], v[151:152]
	s_wait_loadcnt 0x0
	s_delay_alu instid0(VALU_DEP_1) | instskip(SKIP_1) | instid1(VALU_DEP_1)
	v_fma_f64 v[74:75], v[68:69], v[143:144], -v[74:75]
	v_mul_f64_e32 v[68:69], v[68:69], v[151:152]
	v_fma_f64 v[69:70], v[70:71], v[143:144], v[68:69]
	v_and_b32_e32 v68, 3, v122
	s_delay_alu instid0(VALU_DEP_1)
	v_lshlrev_b32_e32 v71, 5, v68
	s_clause 0x3
	global_load_b64 v[103:104], v71, s[10:11] offset:32
	global_load_b128 v[133:136], v111, s[10:11] offset:32
	global_load_b128 v[145:148], v111, s[10:11] offset:48
	;; [unrolled: 1-line block ×3, first 2 shown]
	s_clause 0x1
	scratch_store_b128 off, v[129:132], off offset:472
	scratch_store_b128 off, v[141:144], off offset:504
	s_wait_loadcnt 0x3
	scratch_store_b64 off, v[103:104], off offset:440 ; 8-byte Folded Spill
	s_wait_loadcnt 0x2
	scratch_store_b128 off, v[133:136], off offset:456 ; 16-byte Folded Spill
	s_wait_dscnt 0x9
	v_mul_f64_e32 v[101:102], v[66:67], v[135:136]
	s_wait_loadcnt 0x0
	s_clause 0x1
	scratch_store_b128 off, v[137:140], off offset:488
	scratch_store_b128 off, v[145:148], off offset:520
	v_fma_f64 v[101:102], v[64:65], v[103:104], -v[101:102]
	v_mul_f64_e32 v[64:65], v[64:65], v[135:136]
	s_delay_alu instid0(VALU_DEP_1) | instskip(SKIP_2) | instid1(VALU_DEP_1)
	v_fma_f64 v[64:65], v[66:67], v[103:104], v[64:65]
	s_wait_dscnt 0x7
	v_mul_f64_e32 v[66:67], v[62:63], v[147:148]
	v_fma_f64 v[66:67], v[60:61], v[139:140], -v[66:67]
	v_mul_f64_e32 v[60:61], v[60:61], v[147:148]
	s_delay_alu instid0(VALU_DEP_1) | instskip(SKIP_1) | instid1(VALU_DEP_1)
	v_fma_f64 v[61:62], v[62:63], v[139:140], v[60:61]
	v_and_b32_e32 v60, 3, v106
	v_lshlrev_b32_e32 v63, 5, v60
	s_clause 0x1
	global_load_b128 v[107:110], v63, s[10:11] offset:32
	global_load_b128 v[116:119], v63, s[10:11] offset:48
	s_wait_loadcnt 0x1
	v_mul_f64_e32 v[103:104], v[54:55], v[109:110]
	scratch_store_b128 off, v[107:110], off offset:568 ; 16-byte Folded Spill
	s_wait_loadcnt 0x0
	scratch_store_b128 off, v[116:119], off offset:592 ; 16-byte Folded Spill
	v_fma_f64 v[103:104], v[52:53], v[107:108], -v[103:104]
	v_mul_f64_e32 v[52:53], v[52:53], v[109:110]
	s_delay_alu instid0(VALU_DEP_1) | instskip(SKIP_2) | instid1(VALU_DEP_1)
	v_fma_f64 v[107:108], v[54:55], v[107:108], v[52:53]
	s_wait_dscnt 0x6
	v_mul_f64_e32 v[52:53], v[46:47], v[118:119]
	v_fma_f64 v[109:110], v[44:45], v[116:117], -v[52:53]
	v_mul_f64_e32 v[44:45], v[44:45], v[118:119]
	v_add_f64_e64 v[52:53], v[99:100], -v[74:75]
	s_delay_alu instid0(VALU_DEP_2) | instskip(SKIP_2) | instid1(VALU_DEP_1)
	v_fma_f64 v[116:117], v[46:47], v[116:117], v[44:45]
	s_wait_dscnt 0x3
	v_mul_f64_e32 v[44:45], v[50:51], v[90:91]
	v_fma_f64 v[118:119], v[48:49], v[88:89], -v[44:45]
	v_mul_f64_e32 v[44:45], v[48:49], v[90:91]
	v_add_f64_e64 v[48:49], v[72:73], -v[69:70]
	s_delay_alu instid0(VALU_DEP_2) | instskip(SKIP_2) | instid1(VALU_DEP_1)
	v_fma_f64 v[120:121], v[50:51], v[88:89], v[44:45]
	s_wait_dscnt 0x1
	v_mul_f64_e32 v[44:45], v[42:43], v[114:115]
	v_fma_f64 v[123:124], v[40:41], v[112:113], -v[44:45]
	v_mul_f64_e32 v[40:41], v[40:41], v[114:115]
	v_add_f64_e64 v[44:45], v[97:98], -v[82:83]
	s_delay_alu instid0(VALU_DEP_2) | instskip(SKIP_1) | instid1(VALU_DEP_1)
	v_fma_f64 v[125:126], v[42:43], v[112:113], v[40:41]
	v_mul_f64_e32 v[40:41], v[38:39], v[141:142]
	v_fma_f64 v[127:128], v[36:37], v[129:130], -v[40:41]
	v_mul_f64_e32 v[36:37], v[36:37], v[141:142]
	v_add_f64_e64 v[40:41], v[80:81], -v[78:79]
	s_delay_alu instid0(VALU_DEP_2)
	v_fma_f64 v[129:130], v[38:39], v[129:130], v[36:37]
	global_load_b64 v[38:39], v105, s[10:11] offset:56
	s_wait_loadcnt_dscnt 0x0
	v_mul_f64_e32 v[36:37], v[34:35], v[38:39]
	scratch_store_b64 off, v[38:39], off offset:584 ; 8-byte Folded Spill
	v_fma_f64 v[131:132], v[32:33], v[149:150], -v[36:37]
	global_load_b64 v[36:37], v111, s[10:11] offset:56
	v_mul_f64_e32 v[32:33], v[32:33], v[38:39]
	scratch_store_b128 off, v[149:152], off offset:536 ; 16-byte Folded Spill
	v_fma_f64 v[32:33], v[34:35], v[149:150], v[32:33]
	v_mul_f64_e32 v[34:35], v[30:31], v[137:138]
	s_delay_alu instid0(VALU_DEP_1) | instskip(SKIP_1) | instid1(VALU_DEP_1)
	v_fma_f64 v[34:35], v[28:29], v[133:134], -v[34:35]
	v_mul_f64_e32 v[28:29], v[28:29], v[137:138]
	v_fma_f64 v[28:29], v[30:31], v[133:134], v[28:29]
	s_wait_loadcnt 0x0
	scratch_store_b64 off, v[36:37], off offset:560 ; 8-byte Folded Spill
	v_mul_f64_e32 v[30:31], v[58:59], v[36:37]
	v_mul_f64_e32 v[36:37], v[56:57], v[36:37]
	global_wb scope:SCOPE_SE
	s_wait_storecnt 0x0
	s_barrier_signal -1
	s_barrier_wait -1
	global_inv scope:SCOPE_SE
	v_fma_f64 v[30:31], v[56:57], v[145:146], -v[30:31]
	v_fma_f64 v[133:134], v[58:59], v[145:146], v[36:37]
	v_add_f64_e32 v[36:37], v[97:98], v[82:83]
	v_add_f64_e64 v[56:57], v[64:65], -v[61:62]
	s_delay_alu instid0(VALU_DEP_2) | instskip(SKIP_2) | instid1(VALU_DEP_2)
	v_fma_f64 v[38:39], v[36:37], -0.5, v[24:25]
	v_add_f64_e32 v[36:37], v[80:81], v[78:79]
	v_add_f64_e32 v[24:25], v[24:25], v[97:98]
	v_fma_f64 v[42:43], v[36:37], -0.5, v[26:27]
	s_delay_alu instid0(VALU_DEP_4)
	v_fma_f64 v[36:37], v[40:41], s[0:1], v[38:39]
	s_wait_alu 0xfffe
	v_fma_f64 v[40:41], v[40:41], s[12:13], v[38:39]
	v_add_f64_e32 v[26:27], v[26:27], v[80:81]
	v_add_f64_e32 v[24:25], v[24:25], v[82:83]
	v_add_f64_e64 v[80:81], v[120:121], -v[125:126]
	v_add_f64_e64 v[82:83], v[118:119], -v[123:124]
	v_fma_f64 v[38:39], v[44:45], s[12:13], v[42:43]
	v_fma_f64 v[42:43], v[44:45], s[0:1], v[42:43]
	v_add_f64_e32 v[44:45], v[99:100], v[74:75]
	v_add_f64_e32 v[26:27], v[26:27], v[78:79]
	s_delay_alu instid0(VALU_DEP_2) | instskip(SKIP_2) | instid1(VALU_DEP_2)
	v_fma_f64 v[46:47], v[44:45], -0.5, v[20:21]
	v_add_f64_e32 v[44:45], v[72:73], v[69:70]
	v_add_f64_e32 v[20:21], v[20:21], v[99:100]
	v_fma_f64 v[50:51], v[44:45], -0.5, v[22:23]
	s_delay_alu instid0(VALU_DEP_4)
	v_fma_f64 v[44:45], v[48:49], s[0:1], v[46:47]
	v_fma_f64 v[48:49], v[48:49], s[12:13], v[46:47]
	v_add_f64_e32 v[22:23], v[22:23], v[72:73]
	v_add_f64_e64 v[71:72], v[103:104], -v[109:110]
	v_add_f64_e32 v[20:21], v[20:21], v[74:75]
	v_add_f64_e32 v[73:74], v[120:121], v[125:126]
	v_fma_f64 v[46:47], v[52:53], s[12:13], v[50:51]
	v_fma_f64 v[50:51], v[52:53], s[0:1], v[50:51]
	v_add_f64_e32 v[52:53], v[101:102], v[66:67]
	v_add_f64_e32 v[22:23], v[22:23], v[69:70]
	v_add_f64_e64 v[69:70], v[107:108], -v[116:117]
	v_fma_f64 v[73:74], v[73:74], -0.5, v[10:11]
	v_add_f64_e32 v[10:11], v[10:11], v[120:121]
	v_fma_f64 v[54:55], v[52:53], -0.5, v[16:17]
	v_add_f64_e32 v[52:53], v[64:65], v[61:62]
	v_add_f64_e32 v[16:17], v[16:17], v[101:102]
	v_fma_f64 v[99:100], v[82:83], s[0:1], v[73:74]
	v_add_f64_e32 v[10:11], v[10:11], v[125:126]
	s_delay_alu instid0(VALU_DEP_4) | instskip(SKIP_4) | instid1(VALU_DEP_4)
	v_fma_f64 v[58:59], v[52:53], -0.5, v[18:19]
	v_add_f64_e32 v[18:19], v[18:19], v[64:65]
	v_fma_f64 v[52:53], v[56:57], s[0:1], v[54:55]
	v_fma_f64 v[56:57], v[56:57], s[12:13], v[54:55]
	v_add_f64_e32 v[16:17], v[16:17], v[66:67]
	v_add_f64_e32 v[18:19], v[18:19], v[61:62]
	v_add_f64_e64 v[61:62], v[101:102], -v[66:67]
	s_delay_alu instid0(VALU_DEP_1) | instskip(SKIP_2) | instid1(VALU_DEP_1)
	v_fma_f64 v[54:55], v[61:62], s[12:13], v[58:59]
	v_fma_f64 v[58:59], v[61:62], s[0:1], v[58:59]
	v_add_f64_e32 v[61:62], v[103:104], v[109:110]
	v_fma_f64 v[63:64], v[61:62], -0.5, v[12:13]
	v_add_f64_e32 v[61:62], v[107:108], v[116:117]
	v_add_f64_e32 v[12:13], v[12:13], v[103:104]
	s_delay_alu instid0(VALU_DEP_2) | instskip(NEXT) | instid1(VALU_DEP_4)
	v_fma_f64 v[65:66], v[61:62], -0.5, v[14:15]
	v_fma_f64 v[61:62], v[69:70], s[0:1], v[63:64]
	v_fma_f64 v[69:70], v[69:70], s[12:13], v[63:64]
	v_add_f64_e32 v[14:15], v[14:15], v[107:108]
	v_add_f64_e32 v[12:13], v[12:13], v[109:110]
	v_fma_f64 v[63:64], v[71:72], s[12:13], v[65:66]
	v_fma_f64 v[71:72], v[71:72], s[0:1], v[65:66]
	v_add_f64_e32 v[65:66], v[118:119], v[123:124]
	v_add_f64_e32 v[14:15], v[14:15], v[116:117]
	s_delay_alu instid0(VALU_DEP_2) | instskip(SKIP_1) | instid1(VALU_DEP_2)
	v_fma_f64 v[65:66], v[65:66], -0.5, v[8:9]
	v_add_f64_e32 v[8:9], v[8:9], v[118:119]
	v_fma_f64 v[78:79], v[80:81], s[0:1], v[65:66]
	v_fma_f64 v[97:98], v[80:81], s[12:13], v[65:66]
	v_fma_f64 v[80:81], v[82:83], s[12:13], v[73:74]
	v_add_f64_e32 v[73:74], v[129:130], v[32:33]
	v_add_f64_e32 v[65:66], v[127:128], v[131:132]
	v_add_f64_e64 v[82:83], v[129:130], -v[32:33]
	v_add_f64_e32 v[8:9], v[8:9], v[123:124]
	s_delay_alu instid0(VALU_DEP_4) | instskip(SKIP_3) | instid1(VALU_DEP_3)
	v_fma_f64 v[73:74], v[73:74], -0.5, v[6:7]
	v_add_f64_e32 v[6:7], v[6:7], v[129:130]
	v_fma_f64 v[65:66], v[65:66], -0.5, v[4:5]
	v_add_f64_e32 v[4:5], v[4:5], v[127:128]
	v_add_f64_e32 v[6:7], v[6:7], v[32:33]
	v_add_f64_e64 v[32:33], v[127:128], -v[131:132]
	s_delay_alu instid0(VALU_DEP_4)
	v_fma_f64 v[101:102], v[82:83], s[0:1], v[65:66]
	v_fma_f64 v[107:108], v[82:83], s[12:13], v[65:66]
	v_add_f64_e32 v[65:66], v[28:29], v[133:134]
	v_add_f64_e32 v[4:5], v[4:5], v[131:132]
	v_fma_f64 v[103:104], v[32:33], s[12:13], v[73:74]
	v_fma_f64 v[109:110], v[32:33], s[0:1], v[73:74]
	v_add_f64_e32 v[32:33], v[34:35], v[30:31]
	v_fma_f64 v[65:66], v[65:66], -0.5, v[2:3]
	v_add_f64_e32 v[2:3], v[2:3], v[28:29]
	v_add_f64_e64 v[73:74], v[28:29], -v[133:134]
	s_delay_alu instid0(VALU_DEP_4) | instskip(SKIP_3) | instid1(VALU_DEP_4)
	v_fma_f64 v[32:33], v[32:33], -0.5, v[0:1]
	v_add_f64_e32 v[0:1], v[0:1], v[34:35]
	v_add_f64_e64 v[34:35], v[34:35], -v[30:31]
	v_add_f64_e32 v[2:3], v[2:3], v[133:134]
	v_fma_f64 v[28:29], v[73:74], s[0:1], v[32:33]
	s_delay_alu instid0(VALU_DEP_4) | instskip(NEXT) | instid1(VALU_DEP_4)
	v_add_f64_e32 v[0:1], v[0:1], v[30:31]
	v_fma_f64 v[30:31], v[34:35], s[12:13], v[65:66]
	v_fma_f64 v[34:35], v[34:35], s[0:1], v[65:66]
	v_lshrrev_b32_e32 v65, 2, v175
	v_fma_f64 v[32:33], v[73:74], s[12:13], v[32:33]
	s_delay_alu instid0(VALU_DEP_2) | instskip(NEXT) | instid1(VALU_DEP_1)
	v_mul_u32_u24_e32 v65, 12, v65
	v_or_b32_e32 v65, v65, v96
	s_delay_alu instid0(VALU_DEP_1)
	v_lshlrev_b32_e32 v65, 4, v65
	ds_store_b128 v65, v[24:27]
	ds_store_b128 v65, v[36:39] offset:64
	v_lshrrev_b32_e32 v24, 2, v92
	scratch_store_b32 off, v65, off offset:656 ; 4-byte Folded Spill
	ds_store_b128 v65, v[40:43] offset:128
	v_mul_u32_u24_e32 v24, 12, v24
	s_delay_alu instid0(VALU_DEP_1) | instskip(NEXT) | instid1(VALU_DEP_1)
	v_or_b32_e32 v24, v24, v77
	v_lshlrev_b32_e32 v24, 4, v24
	ds_store_b128 v24, v[20:23]
	ds_store_b128 v24, v[44:47] offset:64
	v_lshrrev_b32_e32 v20, 2, v122
	scratch_store_b32 off, v24, off offset:652 ; 4-byte Folded Spill
	ds_store_b128 v24, v[48:51] offset:128
	v_mul_u32_u24_e32 v20, 12, v20
	s_delay_alu instid0(VALU_DEP_1) | instskip(NEXT) | instid1(VALU_DEP_1)
	v_or_b32_e32 v20, v20, v68
	;; [unrolled: 9-line block ×5, first 2 shown]
	v_lshlrev_b32_e32 v8, 4, v8
	ds_store_b128 v8, v[4:7]
	ds_store_b128 v8, v[101:104] offset:64
	v_lshrrev_b32_e32 v4, 2, v93
	scratch_store_b32 off, v8, off offset:632 ; 4-byte Folded Spill
	ds_store_b128 v8, v[107:110] offset:128
	scratch_store_b32 off, v4, off offset:880 ; 4-byte Folded Spill
	s_and_saveexec_b32 s0, vcc_lo
	s_cbranch_execz .LBB0_5
; %bb.4:
	v_lshrrev_b32_e32 v4, 2, v93
	s_delay_alu instid0(VALU_DEP_1) | instskip(NEXT) | instid1(VALU_DEP_1)
	v_mul_u32_u24_e32 v4, 12, v4
	v_or_b32_e32 v4, v4, v203
	s_delay_alu instid0(VALU_DEP_1)
	v_lshlrev_b32_e32 v4, 4, v4
	ds_store_b128 v4, v[0:3]
	ds_store_b128 v4, v[28:31] offset:64
	ds_store_b128 v4, v[32:35] offset:128
.LBB0_5:
	s_wait_alu 0xfffe
	s_or_b32 exec_lo, exec_lo, s0
	global_wb scope:SCOPE_SE
	s_wait_storecnt_dscnt 0x0
	s_barrier_signal -1
	s_barrier_wait -1
	global_inv scope:SCOPE_SE
	ds_load_b128 v[24:27], v174
	ds_load_b128 v[20:23], v174 offset:1008
	ds_load_b128 v[80:83], v174 offset:6720
	;; [unrolled: 1-line block ×17, first 2 shown]
	s_and_saveexec_b32 s0, vcc_lo
	s_cbranch_execz .LBB0_7
; %bb.6:
	ds_load_b128 v[0:3], v174 offset:6048
	ds_load_b128 v[28:31], v174 offset:12768
	;; [unrolled: 1-line block ×3, first 2 shown]
.LBB0_7:
	s_wait_alu 0xfffe
	s_or_b32 exec_lo, exec_lo, s0
	v_and_b32_e32 v96, 0xff, v175
	s_delay_alu instid0(VALU_DEP_1) | instskip(NEXT) | instid1(VALU_DEP_1)
	v_mul_lo_u16 v96, 0xab, v96
	v_lshrrev_b16 v96, 11, v96
	s_delay_alu instid0(VALU_DEP_1) | instskip(NEXT) | instid1(VALU_DEP_1)
	v_mul_lo_u16 v97, v96, 12
	v_sub_nc_u16 v97, v175, v97
	s_delay_alu instid0(VALU_DEP_1) | instskip(NEXT) | instid1(VALU_DEP_1)
	v_and_b32_e32 v97, 0xff, v97
	v_lshlrev_b32_e32 v100, 5, v97
	global_load_b128 v[101:104], v100, s[10:11] offset:160
	s_wait_loadcnt_dscnt 0xf
	v_mul_f64_e32 v[98:99], v[82:83], v[103:104]
	scratch_store_b128 off, v[101:104], off offset:660 ; 16-byte Folded Spill
	v_fma_f64 v[98:99], v[80:81], v[101:102], -v[98:99]
	v_mul_f64_e32 v[80:81], v[80:81], v[103:104]
	s_delay_alu instid0(VALU_DEP_1) | instskip(SKIP_4) | instid1(VALU_DEP_1)
	v_fma_f64 v[81:82], v[82:83], v[101:102], v[80:81]
	global_load_b128 v[102:105], v100, s[10:11] offset:176
	v_and_b32_e32 v80, 0xff, v92
	s_wait_loadcnt_dscnt 0xd
	v_mul_f64_e32 v[100:101], v[78:79], v[104:105]
	v_fma_f64 v[100:101], v[76:77], v[102:103], -v[100:101]
	v_mul_f64_e32 v[76:77], v[76:77], v[104:105]
	s_delay_alu instid0(VALU_DEP_1) | instskip(SKIP_1) | instid1(VALU_DEP_1)
	v_fma_f64 v[78:79], v[78:79], v[102:103], v[76:77]
	v_mul_lo_u16 v76, 0xab, v80
	v_lshrrev_b16 v76, 11, v76
	s_delay_alu instid0(VALU_DEP_1) | instskip(NEXT) | instid1(VALU_DEP_1)
	v_mul_lo_u16 v77, v76, 12
	v_sub_nc_u16 v77, v92, v77
	s_delay_alu instid0(VALU_DEP_1) | instskip(NEXT) | instid1(VALU_DEP_1)
	v_and_b32_e32 v77, 0xff, v77
	v_lshlrev_b32_e32 v83, 5, v77
	global_load_b128 v[107:110], v83, s[10:11] offset:160
	scratch_store_b128 off, v[102:105], off offset:676 ; 16-byte Folded Spill
	s_wait_loadcnt 0x0
	scratch_store_b128 off, v[107:110], off offset:692 ; 16-byte Folded Spill
	v_mul_f64_e32 v[102:103], v[74:75], v[109:110]
	s_delay_alu instid0(VALU_DEP_1) | instskip(SKIP_1) | instid1(VALU_DEP_1)
	v_fma_f64 v[102:103], v[72:73], v[107:108], -v[102:103]
	v_mul_f64_e32 v[72:73], v[72:73], v[109:110]
	v_fma_f64 v[72:73], v[74:75], v[107:108], v[72:73]
	global_load_b128 v[107:110], v83, s[10:11] offset:176
	s_wait_loadcnt_dscnt 0xc
	v_mul_f64_e32 v[74:75], v[70:71], v[109:110]
	scratch_store_b128 off, v[107:110], off offset:708 ; 16-byte Folded Spill
	v_fma_f64 v[74:75], v[68:69], v[107:108], -v[74:75]
	v_mul_f64_e32 v[68:69], v[68:69], v[109:110]
	s_delay_alu instid0(VALU_DEP_1) | instskip(SKIP_2) | instid1(VALU_DEP_2)
	v_fma_f64 v[70:71], v[70:71], v[107:108], v[68:69]
	v_and_b32_e32 v108, 0xff, v122
	v_and_b32_e32 v107, 0xff, v106
	v_mul_lo_u16 v68, 0xab, v108
	s_delay_alu instid0(VALU_DEP_1) | instskip(NEXT) | instid1(VALU_DEP_1)
	v_lshrrev_b16 v68, 11, v68
	v_mul_lo_u16 v69, v68, 12
	s_delay_alu instid0(VALU_DEP_1) | instskip(NEXT) | instid1(VALU_DEP_1)
	v_sub_nc_u16 v69, v122, v69
	v_and_b32_e32 v69, 0xff, v69
	s_delay_alu instid0(VALU_DEP_1)
	v_lshlrev_b32_e32 v83, 5, v69
	global_load_b128 v[116:119], v83, s[10:11] offset:160
	s_wait_loadcnt_dscnt 0x9
	v_mul_f64_e32 v[104:105], v[66:67], v[118:119]
	scratch_store_b128 off, v[116:119], off offset:724 ; 16-byte Folded Spill
	v_fma_f64 v[104:105], v[64:65], v[116:117], -v[104:105]
	v_mul_f64_e32 v[64:65], v[64:65], v[118:119]
	s_delay_alu instid0(VALU_DEP_1)
	v_fma_f64 v[64:65], v[66:67], v[116:117], v[64:65]
	global_load_b128 v[116:119], v83, s[10:11] offset:176
	s_wait_loadcnt_dscnt 0x7
	v_mul_f64_e32 v[66:67], v[62:63], v[118:119]
	scratch_store_b128 off, v[116:119], off offset:740 ; 16-byte Folded Spill
	v_fma_f64 v[66:67], v[60:61], v[116:117], -v[66:67]
	v_mul_f64_e32 v[60:61], v[60:61], v[118:119]
	s_delay_alu instid0(VALU_DEP_1) | instskip(SKIP_1) | instid1(VALU_DEP_1)
	v_fma_f64 v[62:63], v[62:63], v[116:117], v[60:61]
	v_mul_lo_u16 v60, 0xab, v107
	v_lshrrev_b16 v60, 11, v60
	s_delay_alu instid0(VALU_DEP_1) | instskip(NEXT) | instid1(VALU_DEP_1)
	v_mul_lo_u16 v61, v60, 12
	v_sub_nc_u16 v61, v106, v61
	s_delay_alu instid0(VALU_DEP_1) | instskip(NEXT) | instid1(VALU_DEP_1)
	v_and_b32_e32 v61, 0xff, v61
	v_lshlrev_b32_e32 v83, 5, v61
	global_load_b128 v[116:119], v83, s[10:11] offset:160
	s_wait_loadcnt 0x0
	v_mul_f64_e32 v[109:110], v[58:59], v[118:119]
	scratch_store_b128 off, v[116:119], off offset:756 ; 16-byte Folded Spill
	v_fma_f64 v[109:110], v[56:57], v[116:117], -v[109:110]
	v_mul_f64_e32 v[56:57], v[56:57], v[118:119]
	global_load_b128 v[118:121], v83, s[10:11] offset:176
	v_fma_f64 v[58:59], v[58:59], v[116:117], v[56:57]
	s_wait_loadcnt_dscnt 0x6
	v_mul_f64_e32 v[56:57], v[54:55], v[120:121]
	scratch_store_b128 off, v[118:121], off offset:772 ; 16-byte Folded Spill
	v_fma_f64 v[116:117], v[52:53], v[118:119], -v[56:57]
	v_mul_f64_e32 v[52:53], v[52:53], v[120:121]
	s_delay_alu instid0(VALU_DEP_1) | instskip(SKIP_1) | instid1(VALU_DEP_1)
	v_fma_f64 v[118:119], v[54:55], v[118:119], v[52:53]
	v_and_b32_e32 v52, 0xffff, v95
	v_mul_u32_u24_e32 v52, 0xaaab, v52
	s_delay_alu instid0(VALU_DEP_1) | instskip(NEXT) | instid1(VALU_DEP_1)
	v_lshrrev_b32_e32 v52, 19, v52
	v_mul_lo_u16 v53, v52, 12
	s_delay_alu instid0(VALU_DEP_1) | instskip(NEXT) | instid1(VALU_DEP_1)
	v_sub_nc_u16 v53, v95, v53
	v_lshlrev_b16 v54, 5, v53
	s_delay_alu instid0(VALU_DEP_1) | instskip(NEXT) | instid1(VALU_DEP_1)
	v_and_b32_e32 v54, 0xffff, v54
	v_add_co_u32 v54, s0, s10, v54
	s_wait_alu 0xf1ff
	v_add_co_ci_u32_e64 v55, null, s11, 0, s0
	global_load_b128 v[123:126], v[54:55], off offset:160
	s_wait_loadcnt_dscnt 0x3
	v_mul_f64_e32 v[56:57], v[50:51], v[125:126]
	s_delay_alu instid0(VALU_DEP_1)
	v_fma_f64 v[120:121], v[48:49], v[123:124], -v[56:57]
	global_load_b128 v[54:57], v[54:55], off offset:176
	v_mul_f64_e32 v[48:49], v[48:49], v[125:126]
	scratch_store_b128 off, v[123:126], off offset:788 ; 16-byte Folded Spill
	v_fma_f64 v[50:51], v[50:51], v[123:124], v[48:49]
	s_wait_loadcnt 0x0
	scratch_store_b128 off, v[54:57], off offset:804 ; 16-byte Folded Spill
	s_wait_dscnt 0x1
	v_mul_f64_e32 v[48:49], v[46:47], v[56:57]
	s_delay_alu instid0(VALU_DEP_1) | instskip(SKIP_1) | instid1(VALU_DEP_1)
	v_fma_f64 v[123:124], v[44:45], v[54:55], -v[48:49]
	v_mul_f64_e32 v[44:45], v[44:45], v[56:57]
	v_fma_f64 v[125:126], v[46:47], v[54:55], v[44:45]
	v_and_b32_e32 v44, 0xffff, v94
	s_delay_alu instid0(VALU_DEP_1) | instskip(NEXT) | instid1(VALU_DEP_1)
	v_mul_u32_u24_e32 v44, 0xaaab, v44
	v_lshrrev_b32_e32 v44, 19, v44
	s_delay_alu instid0(VALU_DEP_1) | instskip(NEXT) | instid1(VALU_DEP_1)
	v_mul_lo_u16 v45, v44, 12
	v_sub_nc_u16 v45, v94, v45
	s_delay_alu instid0(VALU_DEP_1) | instskip(NEXT) | instid1(VALU_DEP_1)
	v_lshlrev_b16 v46, 5, v45
	v_and_b32_e32 v46, 0xffff, v46
	s_delay_alu instid0(VALU_DEP_1)
	v_add_co_u32 v46, s0, s10, v46
	s_wait_alu 0xf1ff
	v_add_co_ci_u32_e64 v47, null, s11, 0, s0
	s_clause 0x1
	global_load_b128 v[54:57], v[46:47], off offset:160
	global_load_b128 v[204:207], v[46:47], off offset:176
	v_add_f64_e64 v[46:47], v[98:99], -v[100:101]
	s_wait_loadcnt 0x1
	v_mul_f64_e32 v[48:49], v[42:43], v[56:57]
	scratch_store_b128 off, v[54:57], off offset:820 ; 16-byte Folded Spill
	v_fma_f64 v[127:128], v[40:41], v[54:55], -v[48:49]
	v_mul_f64_e32 v[40:41], v[40:41], v[56:57]
	s_delay_alu instid0(VALU_DEP_1) | instskip(SKIP_3) | instid1(VALU_DEP_2)
	v_fma_f64 v[129:130], v[42:43], v[54:55], v[40:41]
	s_wait_loadcnt_dscnt 0x0
	v_mul_f64_e32 v[40:41], v[38:39], v[206:207]
	v_add_f64_e64 v[54:55], v[72:73], -v[70:71]
	v_fma_f64 v[131:132], v[36:37], v[204:205], -v[40:41]
	v_mul_f64_e32 v[36:37], v[36:37], v[206:207]
	s_delay_alu instid0(VALU_DEP_1) | instskip(SKIP_1) | instid1(VALU_DEP_1)
	v_fma_f64 v[133:134], v[38:39], v[204:205], v[36:37]
	v_and_b32_e32 v36, 0xffff, v93
	v_mul_u32_u24_e32 v36, 0xaaab, v36
	s_delay_alu instid0(VALU_DEP_1) | instskip(NEXT) | instid1(VALU_DEP_1)
	v_lshrrev_b32_e32 v83, 19, v36
	v_mul_lo_u16 v36, v83, 12
	s_delay_alu instid0(VALU_DEP_1) | instskip(NEXT) | instid1(VALU_DEP_1)
	v_sub_nc_u16 v111, v93, v36
	v_lshlrev_b16 v36, 5, v111
	s_delay_alu instid0(VALU_DEP_1) | instskip(NEXT) | instid1(VALU_DEP_1)
	v_and_b32_e32 v36, 0xffff, v36
	v_add_co_u32 v40, s0, s10, v36
	s_wait_alu 0xf1ff
	v_add_co_ci_u32_e64 v41, null, s11, 0, s0
	s_mov_b32 s0, 0xe8584caa
	s_mov_b32 s1, 0x3febb67a
	s_wait_alu 0xfffe
	s_mov_b32 s12, s0
	s_clause 0x1
	global_load_b128 v[208:211], v[40:41], off offset:160
	global_load_b128 v[212:215], v[40:41], off offset:176
	v_add_f64_e64 v[40:41], v[81:82], -v[78:79]
	global_wb scope:SCOPE_SE
	s_wait_loadcnt 0x0
	s_wait_storecnt 0x0
	s_barrier_signal -1
	s_barrier_wait -1
	global_inv scope:SCOPE_SE
	v_mul_f64_e32 v[36:37], v[30:31], v[210:211]
	s_delay_alu instid0(VALU_DEP_1) | instskip(SKIP_1) | instid1(VALU_DEP_1)
	v_fma_f64 v[36:37], v[28:29], v[208:209], -v[36:37]
	v_mul_f64_e32 v[28:29], v[28:29], v[210:211]
	v_fma_f64 v[38:39], v[30:31], v[208:209], v[28:29]
	v_mul_f64_e32 v[28:29], v[34:35], v[214:215]
	v_mul_f64_e32 v[30:31], v[32:33], v[214:215]
	s_delay_alu instid0(VALU_DEP_2) | instskip(SKIP_1) | instid1(VALU_DEP_3)
	v_fma_f64 v[28:29], v[32:33], v[212:213], -v[28:29]
	v_add_f64_e32 v[32:33], v[98:99], v[100:101]
	v_fma_f64 v[30:31], v[34:35], v[212:213], v[30:31]
	s_delay_alu instid0(VALU_DEP_2) | instskip(SKIP_2) | instid1(VALU_DEP_2)
	v_fma_f64 v[34:35], v[32:33], -0.5, v[24:25]
	v_add_f64_e32 v[32:33], v[81:82], v[78:79]
	v_add_f64_e32 v[24:25], v[24:25], v[98:99]
	v_fma_f64 v[42:43], v[32:33], -0.5, v[26:27]
	s_delay_alu instid0(VALU_DEP_4)
	v_fma_f64 v[32:33], v[40:41], s[0:1], v[34:35]
	s_wait_alu 0xfffe
	v_fma_f64 v[40:41], v[40:41], s[12:13], v[34:35]
	v_add_f64_e32 v[26:27], v[26:27], v[81:82]
	v_add_f64_e32 v[24:25], v[24:25], v[100:101]
	v_fma_f64 v[34:35], v[46:47], s[12:13], v[42:43]
	v_fma_f64 v[42:43], v[46:47], s[0:1], v[42:43]
	v_add_f64_e32 v[46:47], v[102:103], v[74:75]
	v_add_f64_e32 v[26:27], v[26:27], v[78:79]
	v_add_f64_e64 v[78:79], v[109:110], -v[116:117]
	s_delay_alu instid0(VALU_DEP_3) | instskip(SKIP_2) | instid1(VALU_DEP_2)
	v_fma_f64 v[48:49], v[46:47], -0.5, v[20:21]
	v_add_f64_e32 v[46:47], v[72:73], v[70:71]
	v_add_f64_e32 v[20:21], v[20:21], v[102:103]
	v_fma_f64 v[56:57], v[46:47], -0.5, v[22:23]
	v_add_f64_e32 v[22:23], v[22:23], v[72:73]
	v_fma_f64 v[46:47], v[54:55], s[0:1], v[48:49]
	v_fma_f64 v[54:55], v[54:55], s[12:13], v[48:49]
	v_add_f64_e32 v[72:73], v[64:65], v[62:63]
	v_add_f64_e32 v[20:21], v[20:21], v[74:75]
	v_add_f64_e32 v[22:23], v[22:23], v[70:71]
	v_add_f64_e64 v[70:71], v[102:103], -v[74:75]
	v_add_f64_e32 v[74:75], v[58:59], v[118:119]
	v_fma_f64 v[72:73], v[72:73], -0.5, v[18:19]
	v_add_f64_e32 v[18:19], v[18:19], v[64:65]
	v_add_f64_e64 v[64:65], v[64:65], -v[62:63]
	v_fma_f64 v[48:49], v[70:71], s[12:13], v[56:57]
	v_fma_f64 v[56:57], v[70:71], s[0:1], v[56:57]
	v_add_f64_e32 v[70:71], v[104:105], v[66:67]
	v_add_f64_e32 v[18:19], v[18:19], v[62:63]
	v_fma_f64 v[74:75], v[74:75], -0.5, v[14:15]
	v_add_f64_e32 v[14:15], v[14:15], v[58:59]
	v_add_f64_e64 v[58:59], v[58:59], -v[118:119]
	v_fma_f64 v[70:71], v[70:71], -0.5, v[16:17]
	v_add_f64_e32 v[16:17], v[16:17], v[104:105]
	v_fma_f64 v[100:101], v[78:79], s[12:13], v[74:75]
	v_add_f64_e32 v[14:15], v[14:15], v[118:119]
	s_delay_alu instid0(VALU_DEP_4) | instskip(NEXT) | instid1(VALU_DEP_4)
	v_fma_f64 v[62:63], v[64:65], s[0:1], v[70:71]
	v_add_f64_e32 v[16:17], v[16:17], v[66:67]
	v_add_f64_e64 v[66:67], v[104:105], -v[66:67]
	v_fma_f64 v[70:71], v[64:65], s[12:13], v[70:71]
	v_fma_f64 v[104:105], v[78:79], s[0:1], v[74:75]
	v_add_f64_e64 v[74:75], v[127:128], -v[131:132]
	s_delay_alu instid0(VALU_DEP_4) | instskip(SKIP_2) | instid1(VALU_DEP_1)
	v_fma_f64 v[64:65], v[66:67], s[12:13], v[72:73]
	v_fma_f64 v[72:73], v[66:67], s[0:1], v[72:73]
	v_add_f64_e32 v[66:67], v[109:110], v[116:117]
	v_fma_f64 v[66:67], v[66:67], -0.5, v[12:13]
	v_add_f64_e32 v[12:13], v[12:13], v[109:110]
	s_delay_alu instid0(VALU_DEP_2) | instskip(SKIP_4) | instid1(VALU_DEP_3)
	v_fma_f64 v[98:99], v[58:59], s[0:1], v[66:67]
	v_fma_f64 v[102:103], v[58:59], s[12:13], v[66:67]
	v_mul_lo_u16 v58, v96, 36
	v_add_f64_e64 v[66:67], v[120:121], -v[123:124]
	v_add_f64_e32 v[12:13], v[12:13], v[116:117]
	v_and_b32_e32 v58, 0xfc, v58
	s_delay_alu instid0(VALU_DEP_1)
	v_add_lshl_u32 v78, v58, v97, 4
	ds_store_b128 v78, v[24:27]
	ds_store_b128 v78, v[32:35] offset:192
	v_add_f64_e32 v[24:25], v[120:121], v[123:124]
	v_and_b32_e32 v32, 0xffff, v76
	scratch_store_b32 off, v78, off offset:856 ; 4-byte Folded Spill
	ds_store_b128 v78, v[40:43] offset:384
	v_mul_u32_u24_e32 v32, 36, v32
	s_delay_alu instid0(VALU_DEP_1)
	v_add_lshl_u32 v32, v32, v77, 4
	ds_store_b128 v32, v[20:23]
	ds_store_b128 v32, v[46:49] offset:192
	v_and_b32_e32 v20, 0xffff, v68
	scratch_store_b32 off, v32, off offset:860 ; 4-byte Folded Spill
	ds_store_b128 v32, v[54:57] offset:384
	v_mul_u32_u24_e32 v20, 36, v20
	s_delay_alu instid0(VALU_DEP_1)
	v_add_lshl_u32 v20, v20, v69, 4
	ds_store_b128 v20, v[16:19]
	ds_store_b128 v20, v[62:65] offset:192
	v_and_b32_e32 v16, 0xffff, v60
	scratch_store_b32 off, v20, off offset:852 ; 4-byte Folded Spill
	ds_store_b128 v20, v[70:73] offset:384
	v_fma_f64 v[26:27], v[24:25], -0.5, v[8:9]
	v_add_f64_e32 v[24:25], v[50:51], v[125:126]
	v_add_f64_e32 v[8:9], v[8:9], v[120:121]
	v_mul_u32_u24_e32 v16, 36, v16
	s_delay_alu instid0(VALU_DEP_1)
	v_add_lshl_u32 v16, v16, v61, 4
	ds_store_b128 v16, v[12:15]
	ds_store_b128 v16, v[98:101] offset:192
	v_mad_u16 v12, v52, 36, v53
	scratch_store_b32 off, v16, off offset:848 ; 4-byte Folded Spill
	ds_store_b128 v16, v[102:105] offset:384
	v_and_b32_e32 v12, 0xffff, v12
	s_delay_alu instid0(VALU_DEP_1) | instskip(SKIP_4) | instid1(VALU_DEP_4)
	v_lshlrev_b32_e32 v12, 4, v12
	v_fma_f64 v[58:59], v[24:25], -0.5, v[10:11]
	v_add_f64_e32 v[10:11], v[10:11], v[50:51]
	v_add_f64_e64 v[50:51], v[50:51], -v[125:126]
	v_add_f64_e32 v[8:9], v[8:9], v[123:124]
	v_fma_f64 v[95:96], v[66:67], s[0:1], v[58:59]
	s_delay_alu instid0(VALU_DEP_4) | instskip(NEXT) | instid1(VALU_DEP_4)
	v_add_f64_e32 v[10:11], v[10:11], v[125:126]
	v_fma_f64 v[24:25], v[50:51], s[0:1], v[26:27]
	v_fma_f64 v[93:94], v[50:51], s[12:13], v[26:27]
	;; [unrolled: 1-line block ×3, first 2 shown]
	v_add_f64_e32 v[50:51], v[127:128], v[131:132]
	v_add_f64_e32 v[58:59], v[129:130], v[133:134]
	v_add_f64_e64 v[66:67], v[129:130], -v[133:134]
	ds_store_b128 v12, v[8:11]
	ds_store_b128 v12, v[24:27] offset:192
	v_mad_u16 v8, v44, 36, v45
	v_fma_f64 v[50:51], v[50:51], -0.5, v[4:5]
	v_fma_f64 v[58:59], v[58:59], -0.5, v[6:7]
	v_add_f64_e32 v[6:7], v[6:7], v[129:130]
	v_add_f64_e32 v[4:5], v[4:5], v[127:128]
	v_and_b32_e32 v8, 0xffff, v8
	scratch_store_b32 off, v12, off offset:844 ; 4-byte Folded Spill
	ds_store_b128 v12, v[93:96] offset:384
	v_add_f64_e64 v[10:11], v[36:37], -v[28:29]
	v_lshlrev_b32_e32 v8, 4, v8
	v_fma_f64 v[116:117], v[66:67], s[0:1], v[50:51]
	v_fma_f64 v[118:119], v[74:75], s[12:13], v[58:59]
	v_add_f64_e32 v[6:7], v[6:7], v[133:134]
	v_add_f64_e32 v[4:5], v[4:5], v[131:132]
	ds_store_b128 v8, v[4:7]
	ds_store_b128 v8, v[116:119] offset:192
	v_mad_u16 v4, v83, 36, v111
	v_fma_f64 v[123:124], v[66:67], s[12:13], v[50:51]
	v_fma_f64 v[125:126], v[74:75], s[0:1], v[58:59]
	scratch_store_b32 off, v8, off offset:840 ; 4-byte Folded Spill
	v_add_f64_e32 v[6:7], v[38:39], v[30:31]
	scratch_store_b32 off, v4, off offset:836 ; 4-byte Folded Spill
	v_add_f64_e32 v[4:5], v[36:37], v[28:29]
	ds_store_b128 v8, v[123:126] offset:384
	v_add_f64_e64 v[8:9], v[38:39], -v[30:31]
	v_fma_f64 v[6:7], v[6:7], -0.5, v[2:3]
	v_fma_f64 v[4:5], v[4:5], -0.5, v[0:1]
	s_delay_alu instid0(VALU_DEP_2) | instskip(NEXT) | instid1(VALU_DEP_2)
	v_fma_f64 v[78:79], v[10:11], s[0:1], v[6:7]
	v_fma_f64 v[76:77], v[8:9], s[12:13], v[4:5]
	s_and_saveexec_b32 s12, vcc_lo
	s_cbranch_execz .LBB0_9
; %bb.8:
	v_mul_f64_e32 v[10:11], s[0:1], v[10:11]
	v_add_f64_e32 v[0:1], v[0:1], v[36:37]
	v_mul_f64_e32 v[14:15], s[0:1], v[8:9]
	v_add_f64_e32 v[12:13], v[2:3], v[38:39]
	s_delay_alu instid0(VALU_DEP_4) | instskip(NEXT) | instid1(VALU_DEP_4)
	v_add_f64_e64 v[2:3], v[6:7], -v[10:11]
	v_add_f64_e32 v[6:7], v[0:1], v[28:29]
	s_delay_alu instid0(VALU_DEP_4) | instskip(SKIP_4) | instid1(VALU_DEP_1)
	v_add_f64_e32 v[0:1], v[14:15], v[4:5]
	scratch_load_b32 v4, off, off offset:836 ; 4-byte Folded Reload
	v_add_f64_e32 v[8:9], v[12:13], v[30:31]
	s_wait_loadcnt 0x0
	v_and_b32_e32 v4, 0xffff, v4
	v_lshlrev_b32_e32 v4, 4, v4
	ds_store_b128 v4, v[6:9]
	ds_store_b128 v4, v[0:3] offset:192
	ds_store_b128 v4, v[76:79] offset:384
.LBB0_9:
	s_wait_alu 0xfffe
	s_or_b32 exec_lo, exec_lo, s12
	v_add_co_u32 v0, s1, 0xffffffdc, v175
	v_cmp_gt_u16_e64 s0, 36, v175
	s_wait_alu 0xf1ff
	v_add_co_ci_u32_e64 v1, null, 0, -1, s1
	global_wb scope:SCOPE_SE
	s_wait_storecnt_dscnt 0x0
	s_barrier_signal -1
	v_cndmask_b32_e64 v12, v0, v175, s0
	v_cndmask_b32_e64 v13, v1, 0, s0
	s_barrier_wait -1
	global_inv scope:SCOPE_SE
	s_mov_b32 s16, 0x134454ff
	s_mov_b32 s17, 0x3fee6f0e
	v_lshlrev_b64_e32 v[0:1], 6, v[12:13]
	s_mov_b32 s19, 0xbfee6f0e
	s_wait_alu 0xfffe
	s_mov_b32 s18, s16
	s_mov_b32 s12, 0x4755a5e
	;; [unrolled: 1-line block ×4, first 2 shown]
	v_add_co_u32 v0, s0, s10, v0
	s_wait_alu 0xf1ff
	v_add_co_ci_u32_e64 v1, s0, s11, v1, s0
	s_wait_alu 0xfffe
	s_mov_b32 s14, s12
	s_mov_b32 s20, 0x372fe950
	s_clause 0x3
	global_load_b128 v[220:223], v[0:1], off offset:544
	global_load_b128 v[240:243], v[0:1], off offset:560
	;; [unrolled: 1-line block ×4, first 2 shown]
	v_mul_lo_u16 v0, v80, 57
	s_mov_b32 s21, 0x3fd3c6ef
	v_cmp_lt_u16_e64 s0, 35, v175
	s_delay_alu instid0(VALU_DEP_2) | instskip(NEXT) | instid1(VALU_DEP_1)
	v_lshrrev_b16 v19, 11, v0
	v_mul_lo_u16 v0, v19, 36
	s_delay_alu instid0(VALU_DEP_1) | instskip(NEXT) | instid1(VALU_DEP_1)
	v_sub_nc_u16 v0, v92, v0
	v_and_b32_e32 v109, 0xff, v0
	s_delay_alu instid0(VALU_DEP_1)
	v_lshlrev_b32_e32 v28, 6, v109
	s_clause 0x1
	global_load_b128 v[228:231], v28, s[10:11] offset:544
	global_load_b128 v[224:227], v28, s[10:11] offset:560
	ds_load_b128 v[0:3], v174 offset:4032
	ds_load_b128 v[4:7], v174 offset:8064
	;; [unrolled: 1-line block ×3, first 2 shown]
	s_clause 0x1
	global_load_b128 v[244:247], v28, s[10:11] offset:576
	global_load_b128 v[248:251], v28, s[10:11] offset:592
	ds_load_b128 v[13:16], v174 offset:16128
	ds_load_b128 v[116:119], v174 offset:19152
	;; [unrolled: 1-line block ×3, first 2 shown]
	s_wait_loadcnt_dscnt 0x705
	v_mul_f64_e32 v[17:18], v[2:3], v[222:223]
	s_wait_loadcnt_dscnt 0x604
	v_mul_f64_e32 v[22:23], v[6:7], v[242:243]
	v_mul_f64_e32 v[20:21], v[0:1], v[222:223]
	;; [unrolled: 1-line block ×3, first 2 shown]
	s_wait_loadcnt_dscnt 0x503
	v_mul_f64_e32 v[26:27], v[10:11], v[238:239]
	v_fma_f64 v[94:95], v[0:1], v[220:221], -v[17:18]
	v_mul_f64_e32 v[0:1], v[8:9], v[238:239]
	v_fma_f64 v[102:103], v[4:5], v[240:241], -v[22:23]
	s_wait_loadcnt_dscnt 0x402
	v_mul_f64_e32 v[4:5], v[15:16], v[234:235]
	v_fma_f64 v[82:83], v[2:3], v[220:221], v[20:21]
	v_fma_f64 v[98:99], v[6:7], v[240:241], v[24:25]
	v_fma_f64 v[96:97], v[8:9], v[236:237], -v[26:27]
	ds_load_b128 v[24:27], v174 offset:7056
	v_mul_f64_e32 v[17:18], v[13:14], v[234:235]
	v_fma_f64 v[92:93], v[10:11], v[236:237], v[0:1]
	ds_load_b128 v[0:3], v174 offset:5040
	v_fma_f64 v[104:105], v[13:14], v[232:233], -v[4:5]
	v_add_f64_e64 v[141:142], v[102:103], -v[94:95]
	v_add_f64_e32 v[123:124], v[102:103], v[96:97]
	v_add_f64_e64 v[139:140], v[102:103], -v[96:97]
	v_fma_f64 v[100:101], v[15:16], v[232:233], v[17:18]
	s_wait_loadcnt_dscnt 0x300
	v_mul_f64_e32 v[6:7], v[2:3], v[230:231]
	v_mul_f64_e32 v[4:5], v[0:1], v[230:231]
	v_add_f64_e64 v[135:136], v[98:99], -v[92:93]
	v_add_f64_e64 v[137:138], v[94:95], -v[104:105]
	;; [unrolled: 1-line block ×3, first 2 shown]
	v_fma_f64 v[64:65], v[0:1], v[228:229], -v[6:7]
	v_fma_f64 v[62:63], v[2:3], v[228:229], v[4:5]
	ds_load_b128 v[0:3], v174 offset:9072
	s_wait_loadcnt_dscnt 0x200
	v_mul_f64_e32 v[4:5], v[2:3], v[226:227]
	s_delay_alu instid0(VALU_DEP_1) | instskip(SKIP_1) | instid1(VALU_DEP_1)
	v_fma_f64 v[66:67], v[0:1], v[224:225], -v[4:5]
	v_mul_f64_e32 v[0:1], v[0:1], v[226:227]
	v_fma_f64 v[68:69], v[2:3], v[224:225], v[0:1]
	ds_load_b128 v[0:3], v174 offset:13104
	s_wait_loadcnt_dscnt 0x100
	v_mul_f64_e32 v[4:5], v[2:3], v[246:247]
	s_delay_alu instid0(VALU_DEP_1) | instskip(SKIP_1) | instid1(VALU_DEP_2)
	v_fma_f64 v[70:71], v[0:1], v[244:245], -v[4:5]
	v_mul_f64_e32 v[0:1], v[0:1], v[246:247]
	v_add_f64_e64 v[145:146], v[66:67], -v[70:71]
	s_delay_alu instid0(VALU_DEP_2) | instskip(SKIP_3) | instid1(VALU_DEP_1)
	v_fma_f64 v[72:73], v[2:3], v[244:245], v[0:1]
	ds_load_b128 v[0:3], v174 offset:17136
	s_wait_loadcnt_dscnt 0x0
	v_mul_f64_e32 v[4:5], v[2:3], v[250:251]
	v_fma_f64 v[74:75], v[0:1], v[248:249], -v[4:5]
	v_mul_f64_e32 v[0:1], v[0:1], v[250:251]
	s_delay_alu instid0(VALU_DEP_2) | instskip(NEXT) | instid1(VALU_DEP_2)
	v_add_f64_e64 v[143:144], v[64:65], -v[74:75]
	v_fma_f64 v[80:81], v[2:3], v[248:249], v[0:1]
	v_mul_lo_u16 v0, v108, 57
	s_delay_alu instid0(VALU_DEP_1) | instskip(NEXT) | instid1(VALU_DEP_1)
	v_lshrrev_b16 v108, 11, v0
	v_mul_lo_u16 v0, v108, 36
	s_delay_alu instid0(VALU_DEP_1) | instskip(NEXT) | instid1(VALU_DEP_1)
	v_sub_nc_u16 v0, v122, v0
	v_and_b32_e32 v110, 0xff, v0
	ds_load_b128 v[0:3], v174 offset:6048
	v_lshlrev_b32_e32 v15, 6, v110
	global_load_b128 v[252:255], v15, s[10:11] offset:544
	s_wait_loadcnt_dscnt 0x0
	v_mul_f64_e32 v[4:5], v[2:3], v[254:255]
	s_delay_alu instid0(VALU_DEP_1)
	v_fma_f64 v[48:49], v[0:1], v[252:253], -v[4:5]
	v_mul_f64_e32 v[0:1], v[0:1], v[254:255]
	ds_load_b128 v[4:7], v174 offset:10080
	v_fma_f64 v[46:47], v[2:3], v[252:253], v[0:1]
	global_load_b128 v[0:3], v15, s[10:11] offset:560
	s_wait_loadcnt_dscnt 0x0
	v_mul_f64_e32 v[8:9], v[6:7], v[2:3]
	s_delay_alu instid0(VALU_DEP_1)
	v_fma_f64 v[50:51], v[4:5], v[0:1], -v[8:9]
	v_mul_f64_e32 v[4:5], v[4:5], v[2:3]
	ds_load_b128 v[8:11], v174 offset:14112
	v_fma_f64 v[52:53], v[6:7], v[0:1], v[4:5]
	global_load_b128 v[4:7], v15, s[10:11] offset:576
	s_wait_loadcnt_dscnt 0x0
	v_mul_f64_e32 v[13:14], v[10:11], v[6:7]
	s_delay_alu instid0(VALU_DEP_1) | instskip(SKIP_1) | instid1(VALU_DEP_1)
	v_fma_f64 v[56:57], v[8:9], v[4:5], -v[13:14]
	v_mul_f64_e32 v[8:9], v[8:9], v[6:7]
	v_fma_f64 v[54:55], v[10:11], v[4:5], v[8:9]
	global_load_b128 v[8:11], v15, s[10:11] offset:592
	ds_load_b128 v[13:16], v174 offset:18144
	s_wait_loadcnt_dscnt 0x0
	v_mul_f64_e32 v[17:18], v[15:16], v[10:11]
	s_delay_alu instid0(VALU_DEP_1) | instskip(SKIP_1) | instid1(VALU_DEP_1)
	v_fma_f64 v[58:59], v[13:14], v[8:9], -v[17:18]
	v_mul_f64_e32 v[13:14], v[13:14], v[10:11]
	v_fma_f64 v[60:61], v[15:16], v[8:9], v[13:14]
	v_mul_lo_u16 v13, v107, 57
	s_delay_alu instid0(VALU_DEP_1) | instskip(NEXT) | instid1(VALU_DEP_1)
	v_lshrrev_b16 v107, 11, v13
	v_mul_lo_u16 v13, v107, 36
	s_delay_alu instid0(VALU_DEP_1) | instskip(NEXT) | instid1(VALU_DEP_1)
	v_sub_nc_u16 v13, v106, v13
	v_and_b32_e32 v106, 0xff, v13
	s_delay_alu instid0(VALU_DEP_1)
	v_lshlrev_b32_e32 v42, 6, v106
	s_clause 0x1
	global_load_b128 v[20:23], v42, s[10:11] offset:544
	global_load_b128 v[32:35], v42, s[10:11] offset:576
	s_wait_loadcnt 0x1
	v_mul_f64_e32 v[13:14], v[26:27], v[22:23]
	s_delay_alu instid0(VALU_DEP_1) | instskip(SKIP_1) | instid1(VALU_DEP_1)
	v_fma_f64 v[15:16], v[24:25], v[20:21], -v[13:14]
	v_mul_f64_e32 v[13:14], v[24:25], v[22:23]
	v_fma_f64 v[13:14], v[26:27], v[20:21], v[13:14]
	global_load_b128 v[24:27], v42, s[10:11] offset:560
	s_wait_loadcnt 0x0
	v_mul_f64_e32 v[17:18], v[30:31], v[26:27]
	s_delay_alu instid0(VALU_DEP_1) | instskip(SKIP_1) | instid1(VALU_DEP_1)
	v_fma_f64 v[17:18], v[28:29], v[24:25], -v[17:18]
	v_mul_f64_e32 v[28:29], v[28:29], v[26:27]
	v_fma_f64 v[36:37], v[30:31], v[24:25], v[28:29]
	ds_load_b128 v[28:31], v174 offset:15120
	s_wait_dscnt 0x0
	v_mul_f64_e32 v[38:39], v[30:31], v[34:35]
	s_delay_alu instid0(VALU_DEP_1) | instskip(SKIP_1) | instid1(VALU_DEP_1)
	v_fma_f64 v[40:41], v[28:29], v[32:33], -v[38:39]
	v_mul_f64_e32 v[28:29], v[28:29], v[34:35]
	v_fma_f64 v[38:39], v[30:31], v[32:33], v[28:29]
	global_load_b128 v[28:31], v42, s[10:11] offset:592
	s_wait_loadcnt 0x0
	v_mul_f64_e32 v[42:43], v[118:119], v[30:31]
	v_mul_f64_e32 v[44:45], v[116:117], v[30:31]
	s_delay_alu instid0(VALU_DEP_2) | instskip(NEXT) | instid1(VALU_DEP_2)
	v_fma_f64 v[42:43], v[116:117], v[28:29], -v[42:43]
	v_fma_f64 v[44:45], v[118:119], v[28:29], v[44:45]
	v_add_f64_e64 v[116:117], v[94:95], -v[102:103]
	v_add_f64_e64 v[118:119], v[104:105], -v[96:97]
	s_delay_alu instid0(VALU_DEP_1) | instskip(SKIP_2) | instid1(VALU_DEP_1)
	v_add_f64_e32 v[120:121], v[116:117], v[118:119]
	v_add_f64_e64 v[116:117], v[82:83], -v[98:99]
	v_add_f64_e64 v[118:119], v[100:101], -v[92:93]
	v_add_f64_e32 v[129:130], v[116:117], v[118:119]
	ds_load_b128 v[116:119], v174
	s_wait_dscnt 0x0
	v_fma_f64 v[127:128], v[123:124], -0.5, v[116:117]
	v_add_f64_e32 v[123:124], v[98:99], v[92:93]
	s_delay_alu instid0(VALU_DEP_1) | instskip(NEXT) | instid1(VALU_DEP_3)
	v_fma_f64 v[131:132], v[123:124], -0.5, v[118:119]
	v_fma_f64 v[123:124], v[133:134], s[16:17], v[127:128]
	v_fma_f64 v[127:128], v[133:134], s[18:19], v[127:128]
	s_delay_alu instid0(VALU_DEP_3) | instskip(SKIP_1) | instid1(VALU_DEP_4)
	v_fma_f64 v[125:126], v[137:138], s[18:19], v[131:132]
	v_fma_f64 v[131:132], v[137:138], s[16:17], v[131:132]
	;; [unrolled: 1-line block ×3, first 2 shown]
	s_wait_alu 0xfffe
	s_delay_alu instid0(VALU_DEP_4) | instskip(NEXT) | instid1(VALU_DEP_4)
	v_fma_f64 v[127:128], v[135:136], s[14:15], v[127:128]
	v_fma_f64 v[125:126], v[139:140], s[14:15], v[125:126]
	s_delay_alu instid0(VALU_DEP_4) | instskip(NEXT) | instid1(VALU_DEP_4)
	v_fma_f64 v[131:132], v[139:140], s[12:13], v[131:132]
	v_fma_f64 v[123:124], v[120:121], s[20:21], v[123:124]
	s_delay_alu instid0(VALU_DEP_4) | instskip(SKIP_4) | instid1(VALU_DEP_4)
	v_fma_f64 v[127:128], v[120:121], s[20:21], v[127:128]
	v_add_f64_e32 v[120:121], v[94:95], v[104:105]
	v_fma_f64 v[125:126], v[129:130], s[20:21], v[125:126]
	v_fma_f64 v[129:130], v[129:130], s[20:21], v[131:132]
	v_add_f64_e32 v[131:132], v[82:83], v[100:101]
	v_fma_f64 v[120:121], v[120:121], -0.5, v[116:117]
	v_add_f64_e32 v[116:117], v[116:117], v[94:95]
	s_delay_alu instid0(VALU_DEP_3) | instskip(SKIP_2) | instid1(VALU_DEP_4)
	v_fma_f64 v[131:132], v[131:132], -0.5, v[118:119]
	v_add_f64_e32 v[118:119], v[118:119], v[82:83]
	v_add_f64_e64 v[82:83], v[98:99], -v[82:83]
	v_add_f64_e32 v[94:95], v[116:117], v[102:103]
	s_delay_alu instid0(VALU_DEP_4) | instskip(NEXT) | instid1(VALU_DEP_4)
	v_fma_f64 v[116:117], v[139:140], s[18:19], v[131:132]
	v_add_f64_e32 v[102:103], v[118:119], v[98:99]
	s_delay_alu instid0(VALU_DEP_3) | instskip(NEXT) | instid1(VALU_DEP_2)
	v_add_f64_e32 v[94:95], v[94:95], v[96:97]
	v_add_f64_e32 v[98:99], v[102:103], v[92:93]
	v_add_f64_e64 v[102:103], v[96:97], -v[104:105]
	s_delay_alu instid0(VALU_DEP_3)
	v_add_f64_e32 v[94:95], v[94:95], v[104:105]
	v_add_f64_e64 v[92:93], v[92:93], -v[100:101]
	v_fma_f64 v[104:105], v[139:140], s[16:17], v[131:132]
	v_add_f64_e32 v[96:97], v[98:99], v[100:101]
	v_fma_f64 v[98:99], v[135:136], s[18:19], v[120:121]
	v_fma_f64 v[100:101], v[135:136], s[16:17], v[120:121]
	v_add_f64_e32 v[118:119], v[141:142], v[102:103]
	v_add_f64_e32 v[82:83], v[82:83], v[92:93]
	v_fma_f64 v[102:103], v[137:138], s[14:15], v[104:105]
	v_fma_f64 v[104:105], v[137:138], s[12:13], v[116:117]
	;; [unrolled: 1-line block ×4, first 2 shown]
	ds_load_b128 v[131:134], v174 offset:1008
	ds_load_b128 v[135:138], v174 offset:2016
	;; [unrolled: 1-line block ×3, first 2 shown]
	global_wb scope:SCOPE_SE
	s_wait_dscnt 0x0
	v_fma_f64 v[102:103], v[82:83], s[20:21], v[102:103]
	s_barrier_signal -1
	s_barrier_wait -1
	global_inv scope:SCOPE_SE
	v_fma_f64 v[100:101], v[118:119], s[20:21], v[92:93]
	v_fma_f64 v[116:117], v[118:119], s[20:21], v[98:99]
	;; [unrolled: 1-line block ×3, first 2 shown]
	s_wait_alu 0xf1ff
	v_cndmask_b32_e64 v82, 0, 0xb4, s0
	v_add_f64_e64 v[92:93], v[74:75], -v[70:71]
	v_add_f64_e64 v[98:99], v[62:63], -v[80:81]
	;; [unrolled: 1-line block ×3, first 2 shown]
	v_cmp_gt_u16_e64 s0, 54, v175
	v_add_lshl_u32 v111, v12, v82, 4
	v_add_f64_e64 v[82:83], v[64:65], -v[66:67]
	ds_store_b128 v111, v[94:97]
	v_add_f64_e64 v[94:95], v[80:81], -v[72:73]
	v_add_f64_e32 v[96:97], v[68:69], v[72:73]
	ds_store_b128 v111, v[123:126] offset:576
	ds_store_b128 v111, v[100:103] offset:1152
	;; [unrolled: 1-line block ×3, first 2 shown]
	scratch_store_b32 off, v111, off offset:876 ; 4-byte Folded Spill
	ds_store_b128 v111, v[127:130] offset:2304
	v_add_f64_e32 v[82:83], v[82:83], v[92:93]
	v_add_f64_e64 v[92:93], v[62:63], -v[68:69]
	v_fma_f64 v[96:97], v[96:97], -0.5, v[133:134]
	s_delay_alu instid0(VALU_DEP_2) | instskip(SKIP_1) | instid1(VALU_DEP_3)
	v_add_f64_e32 v[92:93], v[92:93], v[94:95]
	v_add_f64_e32 v[94:95], v[66:67], v[70:71]
	v_fma_f64 v[147:148], v[143:144], s[18:19], v[96:97]
	v_fma_f64 v[96:97], v[143:144], s[16:17], v[96:97]
	s_delay_alu instid0(VALU_DEP_3) | instskip(NEXT) | instid1(VALU_DEP_3)
	v_fma_f64 v[94:95], v[94:95], -0.5, v[131:132]
	v_fma_f64 v[150:151], v[145:146], s[14:15], v[147:148]
	s_delay_alu instid0(VALU_DEP_3) | instskip(NEXT) | instid1(VALU_DEP_3)
	v_fma_f64 v[96:97], v[145:146], s[12:13], v[96:97]
	v_fma_f64 v[120:121], v[98:99], s[16:17], v[94:95]
	v_fma_f64 v[94:95], v[98:99], s[18:19], v[94:95]
	s_delay_alu instid0(VALU_DEP_4) | instskip(NEXT) | instid1(VALU_DEP_4)
	v_fma_f64 v[150:151], v[92:93], s[20:21], v[150:151]
	v_fma_f64 v[158:159], v[92:93], s[20:21], v[96:97]
	v_add_f64_e32 v[96:97], v[133:134], v[62:63]
	v_add_f64_e32 v[92:93], v[62:63], v[80:81]
	v_fma_f64 v[120:121], v[104:105], s[12:13], v[120:121]
	v_fma_f64 v[94:95], v[104:105], s[14:15], v[94:95]
	s_delay_alu instid0(VALU_DEP_3) | instskip(SKIP_1) | instid1(VALU_DEP_4)
	v_fma_f64 v[92:93], v[92:93], -0.5, v[133:134]
	v_add_f64_e64 v[133:134], v[50:51], -v[48:49]
	v_fma_f64 v[148:149], v[82:83], s[20:21], v[120:121]
	s_delay_alu instid0(VALU_DEP_4) | instskip(SKIP_3) | instid1(VALU_DEP_3)
	v_fma_f64 v[156:157], v[82:83], s[20:21], v[94:95]
	v_add_f64_e32 v[94:95], v[131:132], v[64:65]
	v_add_f64_e32 v[82:83], v[64:65], v[74:75]
	v_add_f64_e64 v[120:121], v[66:67], -v[64:65]
	v_add_f64_e32 v[64:65], v[94:95], v[66:67]
	v_add_f64_e32 v[66:67], v[96:97], v[68:69]
	s_delay_alu instid0(VALU_DEP_4)
	v_fma_f64 v[82:83], v[82:83], -0.5, v[131:132]
	v_add_f64_e64 v[68:69], v[68:69], -v[62:63]
	v_add_f64_e64 v[131:132], v[50:51], -v[56:57]
	v_add_f64_e32 v[62:63], v[64:65], v[70:71]
	v_add_f64_e32 v[64:65], v[66:67], v[72:73]
	v_add_f64_e64 v[66:67], v[70:71], -v[74:75]
	v_add_f64_e64 v[70:71], v[72:73], -v[80:81]
	v_fma_f64 v[72:73], v[104:105], s[18:19], v[82:83]
	v_add_f64_e32 v[62:63], v[62:63], v[74:75]
	v_add_f64_e32 v[64:65], v[64:65], v[80:81]
	v_fma_f64 v[74:75], v[104:105], s[16:17], v[82:83]
	v_fma_f64 v[80:81], v[145:146], s[16:17], v[92:93]
	;; [unrolled: 1-line block ×3, first 2 shown]
	v_add_f64_e32 v[94:95], v[68:69], v[70:71]
	v_add_f64_e32 v[92:93], v[120:121], v[66:67]
	v_fma_f64 v[66:67], v[98:99], s[12:13], v[72:73]
	v_add_f64_e64 v[120:121], v[48:49], -v[58:59]
	v_add_f64_e64 v[104:105], v[52:53], -v[54:55]
	v_fma_f64 v[70:71], v[98:99], s[14:15], v[74:75]
	v_fma_f64 v[68:69], v[143:144], s[14:15], v[80:81]
	v_add_f64_e64 v[74:75], v[48:49], -v[50:51]
	v_add_f64_e64 v[80:81], v[58:59], -v[56:57]
	v_fma_f64 v[72:73], v[143:144], s[12:13], v[82:83]
	v_add_f64_e64 v[82:83], v[60:61], -v[54:55]
	v_fma_f64 v[66:67], v[92:93], s[20:21], v[66:67]
	;; [unrolled: 2-line block ×3, first 2 shown]
	v_fma_f64 v[68:69], v[94:95], s[20:21], v[68:69]
	v_add_f64_e32 v[74:75], v[74:75], v[80:81]
	v_add_f64_e64 v[80:81], v[46:47], -v[52:53]
	v_fma_f64 v[72:73], v[94:95], s[20:21], v[72:73]
	s_delay_alu instid0(VALU_DEP_2) | instskip(SKIP_1) | instid1(VALU_DEP_1)
	v_add_f64_e32 v[92:93], v[80:81], v[82:83]
	v_add_f64_e32 v[80:81], v[50:51], v[56:57]
	v_fma_f64 v[94:95], v[80:81], -0.5, v[135:136]
	v_add_f64_e32 v[80:81], v[52:53], v[54:55]
	s_delay_alu instid0(VALU_DEP_1) | instskip(NEXT) | instid1(VALU_DEP_3)
	v_fma_f64 v[96:97], v[80:81], -0.5, v[137:138]
	v_fma_f64 v[80:81], v[98:99], s[16:17], v[94:95]
	v_fma_f64 v[94:95], v[98:99], s[18:19], v[94:95]
	s_delay_alu instid0(VALU_DEP_3) | instskip(SKIP_1) | instid1(VALU_DEP_3)
	v_fma_f64 v[82:83], v[120:121], s[18:19], v[96:97]
	v_fma_f64 v[96:97], v[120:121], s[16:17], v[96:97]
	;; [unrolled: 1-line block ×4, first 2 shown]
	s_delay_alu instid0(VALU_DEP_4) | instskip(NEXT) | instid1(VALU_DEP_4)
	v_fma_f64 v[82:83], v[131:132], s[14:15], v[82:83]
	v_fma_f64 v[96:97], v[131:132], s[12:13], v[96:97]
	s_delay_alu instid0(VALU_DEP_4)
	v_fma_f64 v[144:145], v[74:75], s[20:21], v[94:95]
	v_add_f64_e32 v[94:95], v[135:136], v[48:49]
	v_fma_f64 v[80:81], v[74:75], s[20:21], v[80:81]
	v_add_f64_e32 v[74:75], v[48:49], v[58:59]
	v_fma_f64 v[82:83], v[92:93], s[20:21], v[82:83]
	v_fma_f64 v[146:147], v[92:93], s[20:21], v[96:97]
	v_add_f64_e32 v[96:97], v[137:138], v[46:47]
	v_add_f64_e32 v[92:93], v[46:47], v[60:61]
	;; [unrolled: 1-line block ×3, first 2 shown]
	v_fma_f64 v[74:75], v[74:75], -0.5, v[135:136]
	s_delay_alu instid0(VALU_DEP_4) | instskip(NEXT) | instid1(VALU_DEP_4)
	v_add_f64_e32 v[50:51], v[96:97], v[52:53]
	v_fma_f64 v[92:93], v[92:93], -0.5, v[137:138]
	v_add_f64_e64 v[52:53], v[52:53], -v[46:47]
	v_add_f64_e32 v[46:47], v[48:49], v[56:57]
	s_delay_alu instid0(VALU_DEP_4) | instskip(SKIP_2) | instid1(VALU_DEP_4)
	v_add_f64_e32 v[48:49], v[50:51], v[54:55]
	v_add_f64_e64 v[50:51], v[56:57], -v[58:59]
	v_add_f64_e64 v[54:55], v[54:55], -v[60:61]
	v_add_f64_e32 v[46:47], v[46:47], v[58:59]
	v_fma_f64 v[58:59], v[104:105], s[16:17], v[74:75]
	v_fma_f64 v[56:57], v[104:105], s[18:19], v[74:75]
	v_fma_f64 v[74:75], v[131:132], s[18:19], v[92:93]
	v_add_f64_e64 v[104:105], v[13:14], -v[44:45]
	v_add_f64_e32 v[48:49], v[48:49], v[60:61]
	v_fma_f64 v[60:61], v[131:132], s[16:17], v[92:93]
	v_add_f64_e32 v[94:95], v[52:53], v[54:55]
	v_add_f64_e32 v[92:93], v[133:134], v[50:51]
	v_fma_f64 v[54:55], v[98:99], s[14:15], v[58:59]
	v_add_f64_e64 v[58:59], v[17:18], -v[15:16]
	v_fma_f64 v[50:51], v[98:99], s[12:13], v[56:57]
	v_fma_f64 v[56:57], v[120:121], s[12:13], v[74:75]
	v_add_f64_e64 v[74:75], v[38:39], -v[44:45]
	v_add_f64_e64 v[98:99], v[36:37], -v[38:39]
	;; [unrolled: 1-line block ×3, first 2 shown]
	v_fma_f64 v[52:53], v[120:121], s[14:15], v[60:61]
	v_add_f64_e64 v[60:61], v[40:41], -v[42:43]
	v_add_f64_e64 v[120:121], v[17:18], -v[40:41]
	v_fma_f64 v[54:55], v[92:93], s[20:21], v[54:55]
	v_fma_f64 v[50:51], v[92:93], s[20:21], v[50:51]
	v_add_f64_e32 v[92:93], v[13:14], v[44:45]
	v_fma_f64 v[56:57], v[94:95], s[20:21], v[56:57]
	v_fma_f64 v[52:53], v[94:95], s[20:21], v[52:53]
	v_add_f64_e32 v[58:59], v[58:59], v[60:61]
	v_add_f64_e64 v[60:61], v[36:37], -v[13:14]
	v_fma_f64 v[96:97], v[92:93], -0.5, v[141:142]
	s_delay_alu instid0(VALU_DEP_2) | instskip(SKIP_1) | instid1(VALU_DEP_3)
	v_add_f64_e32 v[60:61], v[60:61], v[74:75]
	v_add_f64_e32 v[74:75], v[15:16], v[42:43]
	v_fma_f64 v[94:95], v[120:121], s[16:17], v[96:97]
	v_fma_f64 v[96:97], v[120:121], s[18:19], v[96:97]
	s_delay_alu instid0(VALU_DEP_3) | instskip(NEXT) | instid1(VALU_DEP_3)
	v_fma_f64 v[74:75], v[74:75], -0.5, v[139:140]
	v_fma_f64 v[94:95], v[131:132], s[14:15], v[94:95]
	s_delay_alu instid0(VALU_DEP_3) | instskip(NEXT) | instid1(VALU_DEP_3)
	v_fma_f64 v[96:97], v[131:132], s[12:13], v[96:97]
	v_fma_f64 v[92:93], v[98:99], s[18:19], v[74:75]
	;; [unrolled: 1-line block ×3, first 2 shown]
	s_delay_alu instid0(VALU_DEP_4) | instskip(NEXT) | instid1(VALU_DEP_4)
	v_fma_f64 v[94:95], v[60:61], s[20:21], v[94:95]
	v_fma_f64 v[178:179], v[60:61], s[20:21], v[96:97]
	v_add_f64_e32 v[96:97], v[141:142], v[13:14]
	v_add_f64_e32 v[60:61], v[36:37], v[38:39]
	v_add_f64_e64 v[12:13], v[13:14], -v[36:37]
	v_fma_f64 v[92:93], v[104:105], s[12:13], v[92:93]
	v_fma_f64 v[74:75], v[104:105], s[14:15], v[74:75]
	s_delay_alu instid0(VALU_DEP_4) | instskip(NEXT) | instid1(VALU_DEP_3)
	v_fma_f64 v[60:61], v[60:61], -0.5, v[141:142]
	v_fma_f64 v[92:93], v[58:59], s[20:21], v[92:93]
	s_delay_alu instid0(VALU_DEP_3) | instskip(SKIP_3) | instid1(VALU_DEP_3)
	v_fma_f64 v[176:177], v[58:59], s[20:21], v[74:75]
	v_add_f64_e32 v[74:75], v[139:140], v[15:16]
	v_add_f64_e32 v[58:59], v[17:18], v[40:41]
	v_add_f64_e64 v[15:16], v[15:16], -v[17:18]
	v_add_f64_e32 v[17:18], v[74:75], v[17:18]
	v_add_f64_e32 v[74:75], v[96:97], v[36:37]
	s_delay_alu instid0(VALU_DEP_4) | instskip(NEXT) | instid1(VALU_DEP_3)
	v_fma_f64 v[58:59], v[58:59], -0.5, v[139:140]
	v_add_f64_e32 v[17:18], v[17:18], v[40:41]
	s_delay_alu instid0(VALU_DEP_3) | instskip(SKIP_1) | instid1(VALU_DEP_3)
	v_add_f64_e32 v[36:37], v[74:75], v[38:39]
	v_add_f64_e64 v[40:41], v[42:43], -v[40:41]
	v_add_f64_e32 v[152:153], v[17:18], v[42:43]
	s_delay_alu instid0(VALU_DEP_3)
	v_add_f64_e32 v[154:155], v[36:37], v[44:45]
	v_add_f64_e64 v[17:18], v[44:45], -v[38:39]
	v_fma_f64 v[36:37], v[104:105], s[16:17], v[58:59]
	v_fma_f64 v[38:39], v[104:105], s[18:19], v[58:59]
	;; [unrolled: 1-line block ×4, first 2 shown]
	v_add_f64_e32 v[14:15], v[15:16], v[40:41]
	v_add_f64_e32 v[12:13], v[12:13], v[17:18]
	v_fma_f64 v[16:17], v[98:99], s[12:13], v[36:37]
	v_fma_f64 v[36:37], v[98:99], s[14:15], v[38:39]
	;; [unrolled: 1-line block ×4, first 2 shown]
	v_add_co_u32 v120, s1, s8, v174
	s_wait_alu 0xf1ff
	v_add_co_ci_u32_e64 v121, null, s9, 0, s1
	v_fma_f64 v[196:197], v[14:15], s[20:21], v[16:17]
	v_fma_f64 v[96:97], v[14:15], s[20:21], v[36:37]
	;; [unrolled: 1-line block ×4, first 2 shown]
	v_and_b32_e32 v12, 0xffff, v19
	s_delay_alu instid0(VALU_DEP_1) | instskip(NEXT) | instid1(VALU_DEP_1)
	v_mul_u32_u24_e32 v12, 0xb4, v12
	v_add_lshl_u32 v12, v12, v109, 4
	ds_store_b128 v12, v[62:65]
	ds_store_b128 v12, v[148:151] offset:576
	ds_store_b128 v12, v[66:69] offset:1152
	;; [unrolled: 1-line block ×3, first 2 shown]
	scratch_store_b32 off, v12, off offset:872 ; 4-byte Folded Spill
	ds_store_b128 v12, v[156:159] offset:2304
	v_and_b32_e32 v12, 0xffff, v108
	s_delay_alu instid0(VALU_DEP_1) | instskip(NEXT) | instid1(VALU_DEP_1)
	v_mul_u32_u24_e32 v12, 0xb4, v12
	v_add_lshl_u32 v13, v12, v110, 4
	v_and_b32_e32 v12, 0xffff, v107
	ds_store_b128 v13, v[46:49]
	ds_store_b128 v13, v[80:83] offset:576
	ds_store_b128 v13, v[50:53] offset:1152
	;; [unrolled: 1-line block ×3, first 2 shown]
	v_mul_u32_u24_e32 v12, 0xb4, v12
	scratch_store_b32 off, v13, off offset:868 ; 4-byte Folded Spill
	v_add_lshl_u32 v12, v12, v106, 4
	ds_store_b128 v13, v[144:147] offset:2304
	ds_store_b128 v12, v[152:155]
	ds_store_b128 v12, v[196:199] offset:576
	ds_store_b128 v12, v[92:95] offset:1152
	;; [unrolled: 1-line block ×3, first 2 shown]
	scratch_store_b32 off, v12, off offset:864 ; 4-byte Folded Spill
	ds_store_b128 v12, v[96:99] offset:2304
	global_wb scope:SCOPE_SE
	s_wait_storecnt_dscnt 0x0
	s_barrier_signal -1
	s_barrier_wait -1
	global_inv scope:SCOPE_SE
	ds_load_b128 v[80:83], v174
	ds_load_b128 v[148:151], v174 offset:1008
	ds_load_b128 v[64:67], v174 offset:2880
	;; [unrolled: 1-line block ×13, first 2 shown]
	s_and_saveexec_b32 s1, s0
	s_cbranch_execz .LBB0_11
; %bb.10:
	ds_load_b128 v[144:147], v174 offset:2016
	ds_load_b128 v[152:155], v174 offset:4896
	;; [unrolled: 1-line block ×7, first 2 shown]
.LBB0_11:
	s_wait_alu 0xfffe
	s_or_b32 exec_lo, exec_lo, s1
	v_mad_co_u64_u32 v[123:124], null, 0x60, v175, s[10:11]
	s_mov_b32 s22, 0x37e14327
	s_mov_b32 s14, 0x36b3c0b5
	;; [unrolled: 1-line block ×6, first 2 shown]
	s_clause 0x3
	global_load_b128 v[12:15], v[123:124], off offset:2896
	global_load_b128 v[16:19], v[123:124], off offset:2880
	;; [unrolled: 1-line block ×4, first 2 shown]
	s_mov_b32 s24, 0xaaaaaaaa
	s_mov_b32 s12, 0x5476071b
	;; [unrolled: 1-line block ×6, first 2 shown]
	s_wait_alu 0xfffe
	s_mov_b32 s16, s12
	s_mov_b32 s27, 0x3fd5d0dc
	;; [unrolled: 1-line block ×6, first 2 shown]
	s_wait_loadcnt_dscnt 0xb
	v_mul_f64_e32 v[116:117], v[66:67], v[50:51]
	s_delay_alu instid0(VALU_DEP_1) | instskip(SKIP_1) | instid1(VALU_DEP_1)
	v_fma_f64 v[166:167], v[64:65], v[48:49], -v[116:117]
	v_mul_f64_e32 v[64:65], v[64:65], v[50:51]
	v_fma_f64 v[168:169], v[66:67], v[48:49], v[64:65]
	s_wait_dscnt 0x9
	v_mul_f64_e32 v[64:65], v[62:63], v[38:39]
	s_delay_alu instid0(VALU_DEP_1) | instskip(SKIP_1) | instid1(VALU_DEP_1)
	v_fma_f64 v[170:171], v[60:61], v[36:37], -v[64:65]
	v_mul_f64_e32 v[60:61], v[60:61], v[38:39]
	v_fma_f64 v[172:173], v[62:63], v[36:37], v[60:61]
	s_wait_dscnt 0x7
	;; [unrolled: 6-line block ×3, first 2 shown]
	v_mul_f64_e32 v[56:57], v[54:55], v[14:15]
	s_delay_alu instid0(VALU_DEP_1) | instskip(SKIP_1) | instid1(VALU_DEP_1)
	v_fma_f64 v[184:185], v[52:53], v[12:13], -v[56:57]
	v_mul_f64_e32 v[52:53], v[52:53], v[14:15]
	v_fma_f64 v[186:187], v[54:55], v[12:13], v[52:53]
	s_clause 0x1
	global_load_b128 v[60:63], v[123:124], off offset:2928
	global_load_b128 v[52:55], v[123:124], off offset:2912
	s_wait_loadcnt_dscnt 0x3
	v_mul_f64_e32 v[56:57], v[46:47], v[54:55]
	s_delay_alu instid0(VALU_DEP_1) | instskip(SKIP_1) | instid1(VALU_DEP_1)
	v_fma_f64 v[188:189], v[44:45], v[52:53], -v[56:57]
	v_mul_f64_e32 v[44:45], v[44:45], v[54:55]
	v_fma_f64 v[190:191], v[46:47], v[52:53], v[44:45]
	s_wait_dscnt 0x1
	v_mul_f64_e32 v[44:45], v[42:43], v[62:63]
	s_delay_alu instid0(VALU_DEP_1) | instskip(SKIP_1) | instid1(VALU_DEP_1)
	v_fma_f64 v[192:193], v[40:41], v[60:61], -v[44:45]
	v_mul_f64_e32 v[40:41], v[40:41], v[62:63]
	v_fma_f64 v[194:195], v[42:43], v[60:61], v[40:41]
	s_clause 0x3
	global_load_b128 v[40:43], v[123:124], off offset:8944
	global_load_b128 v[44:47], v[123:124], off offset:8928
	;; [unrolled: 1-line block ×4, first 2 shown]
	s_wait_loadcnt 0x0
	v_mul_f64_e32 v[116:117], v[218:219], v[66:67]
	s_delay_alu instid0(VALU_DEP_1) | instskip(SKIP_1) | instid1(VALU_DEP_1)
	v_fma_f64 v[158:159], v[216:217], v[64:65], -v[116:117]
	v_mul_f64_e32 v[116:117], v[216:217], v[66:67]
	v_fma_f64 v[162:163], v[218:219], v[64:65], v[116:117]
	v_mul_f64_e32 v[116:117], v[110:111], v[58:59]
	s_delay_alu instid0(VALU_DEP_1) | instskip(SKIP_1) | instid1(VALU_DEP_1)
	v_fma_f64 v[116:117], v[108:109], v[56:57], -v[116:117]
	v_mul_f64_e32 v[108:109], v[108:109], v[58:59]
	v_fma_f64 v[118:119], v[110:111], v[56:57], v[108:109]
	;; [unrolled: 5-line block ×4, first 2 shown]
	s_clause 0x1
	global_load_b128 v[72:75], v[123:124], off offset:8976
	global_load_b128 v[68:71], v[123:124], off offset:8960
	s_wait_loadcnt 0x0
	v_mul_f64_e32 v[108:109], v[106:107], v[70:71]
	s_delay_alu instid0(VALU_DEP_1) | instskip(SKIP_1) | instid1(VALU_DEP_1)
	v_fma_f64 v[164:165], v[104:105], v[68:69], -v[108:109]
	v_mul_f64_e32 v[104:105], v[104:105], v[70:71]
	v_fma_f64 v[104:105], v[106:107], v[68:69], v[104:105]
	s_wait_dscnt 0x0
	v_mul_f64_e32 v[106:107], v[102:103], v[74:75]
	s_delay_alu instid0(VALU_DEP_1) | instskip(SKIP_1) | instid1(VALU_DEP_1)
	v_fma_f64 v[106:107], v[100:101], v[72:73], -v[106:107]
	v_mul_f64_e32 v[100:101], v[100:101], v[74:75]
	v_fma_f64 v[100:101], v[102:103], v[72:73], v[100:101]
	v_subrev_nc_u32_e32 v102, 54, v175
	s_delay_alu instid0(VALU_DEP_1) | instskip(NEXT) | instid1(VALU_DEP_1)
	v_cndmask_b32_e64 v102, v102, v122, s0
	v_mul_hi_i32_i24_e32 v103, 0x60, v102
	v_mul_i32_i24_e32 v102, 0x60, v102
	s_delay_alu instid0(VALU_DEP_1) | instskip(SKIP_1) | instid1(VALU_DEP_3)
	v_add_co_u32 v102, s1, s10, v102
	s_wait_alu 0xf1ff
	v_add_co_ci_u32_e64 v103, s1, s11, v103, s1
	s_clause 0x3
	global_load_b128 v[134:137], v[102:103], off offset:2896
	global_load_b128 v[122:125], v[102:103], off offset:2880
	;; [unrolled: 1-line block ×4, first 2 shown]
	s_mov_b32 s10, 0x429ad128
	s_mov_b32 s11, 0x3febfeb5
	s_wait_loadcnt 0x3
	scratch_store_b128 off, v[134:137], off offset:884 ; 16-byte Folded Spill
	s_wait_loadcnt 0x2
	scratch_store_b128 off, v[122:125], off offset:900 ; 16-byte Folded Spill
	;; [unrolled: 2-line block ×3, first 2 shown]
	s_wait_loadcnt 0x0
	v_mul_f64_e32 v[108:109], v[154:155], v[128:129]
	scratch_store_b128 off, v[126:129], off offset:932 ; 16-byte Folded Spill
	v_fma_f64 v[130:131], v[152:153], v[126:127], -v[108:109]
	v_mul_f64_e32 v[108:109], v[152:153], v[128:129]
	s_delay_alu instid0(VALU_DEP_1) | instskip(SKIP_1) | instid1(VALU_DEP_1)
	v_fma_f64 v[132:133], v[154:155], v[126:127], v[108:109]
	v_mul_f64_e32 v[108:109], v[198:199], v[218:219]
	v_fma_f64 v[126:127], v[196:197], v[216:217], -v[108:109]
	v_mul_f64_e32 v[108:109], v[196:197], v[218:219]
	s_delay_alu instid0(VALU_DEP_1) | instskip(SKIP_1) | instid1(VALU_DEP_1)
	v_fma_f64 v[128:129], v[198:199], v[216:217], v[108:109]
	v_mul_f64_e32 v[108:109], v[94:95], v[124:125]
	v_fma_f64 v[108:109], v[92:93], v[122:123], -v[108:109]
	v_mul_f64_e32 v[92:93], v[92:93], v[124:125]
	s_delay_alu instid0(VALU_DEP_1) | instskip(SKIP_2) | instid1(VALU_DEP_2)
	v_fma_f64 v[110:111], v[94:95], v[122:123], v[92:93]
	v_mul_f64_e32 v[92:93], v[178:179], v[136:137]
	v_add_f64_e64 v[94:95], v[166:167], -v[192:193]
	v_fma_f64 v[122:123], v[176:177], v[134:135], -v[92:93]
	v_mul_f64_e32 v[92:93], v[176:177], v[136:137]
	s_clause 0x1
	global_load_b128 v[152:155], v[102:103], off offset:2928
	global_load_b128 v[136:139], v[102:103], off offset:2912
	v_add_f64_e32 v[102:103], v[172:173], v[190:191]
	v_fma_f64 v[124:125], v[178:179], v[134:135], v[92:93]
	s_wait_loadcnt 0x1
	scratch_store_b128 off, v[152:155], off offset:948 ; 16-byte Folded Spill
	s_wait_loadcnt 0x0
	v_mul_f64_e32 v[92:93], v[98:99], v[138:139]
	scratch_store_b128 off, v[136:139], off offset:964 ; 16-byte Folded Spill
	v_fma_f64 v[134:135], v[96:97], v[136:137], -v[92:93]
	v_mul_f64_e32 v[92:93], v[96:97], v[138:139]
	v_add_f64_e64 v[96:97], v[168:169], -v[194:195]
	s_delay_alu instid0(VALU_DEP_2) | instskip(SKIP_2) | instid1(VALU_DEP_2)
	v_fma_f64 v[136:137], v[98:99], v[136:137], v[92:93]
	v_mul_f64_e32 v[92:93], v[78:79], v[154:155]
	v_add_f64_e32 v[98:99], v[170:171], v[188:189]
	v_fma_f64 v[138:139], v[76:77], v[152:153], -v[92:93]
	v_mul_f64_e32 v[76:77], v[76:77], v[154:155]
	v_add_f64_e32 v[92:93], v[168:169], v[194:195]
	v_add_f64_e64 v[154:155], v[172:173], -v[190:191]
	v_add_f64_e32 v[168:169], v[182:183], v[186:187]
	v_add_f64_e64 v[172:173], v[186:187], -v[182:183]
	v_fma_f64 v[76:77], v[78:79], v[152:153], v[76:77]
	v_add_f64_e32 v[78:79], v[166:167], v[192:193]
	v_add_f64_e64 v[152:153], v[170:171], -v[188:189]
	v_add_f64_e32 v[166:167], v[180:181], v[184:185]
	v_add_f64_e64 v[170:171], v[184:185], -v[180:181]
	;; [unrolled: 2-line block ×3, first 2 shown]
	v_add_f64_e64 v[92:93], v[92:93], -v[168:169]
	v_add_f64_e64 v[102:103], v[168:169], -v[102:103]
	v_add_f64_e32 v[186:187], v[172:173], v[154:155]
	v_add_f64_e64 v[190:191], v[172:173], -v[154:155]
	v_add_f64_e64 v[194:195], v[154:155], -v[96:97]
	;; [unrolled: 1-line block ×3, first 2 shown]
	v_add_f64_e32 v[176:177], v[98:99], v[78:79]
	v_add_f64_e64 v[180:181], v[98:99], -v[78:79]
	v_add_f64_e64 v[78:79], v[78:79], -v[166:167]
	;; [unrolled: 1-line block ×4, first 2 shown]
	v_add_f64_e32 v[168:169], v[168:169], v[178:179]
	v_add_f64_e32 v[184:185], v[170:171], v[152:153]
	v_add_f64_e64 v[170:171], v[94:95], -v[170:171]
	v_add_f64_e64 v[192:193], v[152:153], -v[94:95]
	v_add_f64_e32 v[96:97], v[186:187], v[96:97]
	v_mul_f64_e32 v[178:179], s[18:19], v[190:191]
	s_wait_alu 0xfffe
	v_mul_f64_e32 v[186:187], s[10:11], v[194:195]
	v_add_f64_e32 v[166:167], v[166:167], v[176:177]
	v_mul_f64_e32 v[78:79], s[22:23], v[78:79]
	v_mul_f64_e32 v[176:177], s[18:19], v[188:189]
	v_add_f64_e32 v[154:155], v[82:83], v[168:169]
	v_mul_f64_e32 v[82:83], s[14:15], v[98:99]
	v_add_f64_e32 v[94:95], v[184:185], v[94:95]
	;; [unrolled: 2-line block ×3, first 2 shown]
	v_mul_f64_e32 v[80:81], s[22:23], v[92:93]
	v_mul_f64_e32 v[92:93], s[14:15], v[102:103]
	v_fma_f64 v[98:99], v[98:99], s[14:15], v[78:79]
	v_fma_f64 v[78:79], v[180:181], s[16:17], -v[78:79]
	v_fma_f64 v[168:169], v[168:169], s[24:25], v[154:155]
	v_fma_f64 v[82:83], v[180:181], s[12:13], -v[82:83]
	;; [unrolled: 2-line block ×3, first 2 shown]
	v_fma_f64 v[170:171], v[170:171], s[28:29], -v[184:185]
	v_fma_f64 v[166:167], v[166:167], s[24:25], v[152:153]
	v_fma_f64 v[102:103], v[102:103], s[14:15], v[80:81]
	v_fma_f64 v[92:93], v[182:183], s[12:13], -v[92:93]
	v_fma_f64 v[80:81], v[182:183], s[16:17], -v[80:81]
	v_fma_f64 v[182:183], v[172:173], s[26:27], v[178:179]
	v_fma_f64 v[178:179], v[194:195], s[10:11], -v[178:179]
	v_fma_f64 v[172:173], v[172:173], s[28:29], -v[186:187]
	v_add_f64_e32 v[98:99], v[98:99], v[166:167]
	v_add_f64_e32 v[102:103], v[102:103], v[168:169]
	;; [unrolled: 1-line block ×6, first 2 shown]
	v_fma_f64 v[168:169], v[94:95], s[20:21], v[180:181]
	v_fma_f64 v[180:181], v[96:97], s[20:21], v[182:183]
	;; [unrolled: 1-line block ×6, first 2 shown]
	v_add_f64_e64 v[178:179], v[102:103], -v[168:169]
	v_add_f64_e32 v[176:177], v[180:181], v[98:99]
	v_add_f64_e32 v[218:219], v[182:183], v[92:93]
	v_add_f64_e64 v[216:217], v[82:83], -v[80:81]
	v_add_f64_e32 v[196:197], v[96:97], v[78:79]
	v_add_f64_e32 v[80:81], v[80:81], v[82:83]
	v_add_f64_e64 v[82:83], v[92:93], -v[182:183]
	v_add_f64_e64 v[92:93], v[78:79], -v[96:97]
	;; [unrolled: 1-line block ×3, first 2 shown]
	v_add_f64_e32 v[98:99], v[168:169], v[102:103]
	v_add_f64_e32 v[78:79], v[158:159], v[106:107]
	;; [unrolled: 1-line block ×3, first 2 shown]
	v_add_f64_e64 v[106:107], v[158:159], -v[106:107]
	v_add_f64_e64 v[100:101], v[162:163], -v[100:101]
	v_add_f64_e32 v[158:159], v[116:117], v[164:165]
	v_add_f64_e32 v[162:163], v[118:119], v[104:105]
	v_add_f64_e64 v[116:117], v[116:117], -v[164:165]
	v_add_f64_e64 v[104:105], v[118:119], -v[104:105]
	v_add_f64_e32 v[118:119], v[140:141], v[156:157]
	v_add_f64_e32 v[164:165], v[142:143], v[160:161]
	v_add_f64_e64 v[140:141], v[156:157], -v[140:141]
	v_add_f64_e64 v[142:143], v[160:161], -v[142:143]
	;; [unrolled: 1-line block ×3, first 2 shown]
	v_add_f64_e32 v[94:95], v[94:95], v[166:167]
	v_add_f64_e32 v[156:157], v[158:159], v[78:79]
	;; [unrolled: 1-line block ×3, first 2 shown]
	v_add_f64_e64 v[166:167], v[158:159], -v[78:79]
	v_add_f64_e64 v[168:169], v[162:163], -v[102:103]
	v_add_f64_e64 v[78:79], v[78:79], -v[118:119]
	v_add_f64_e64 v[102:103], v[102:103], -v[164:165]
	v_add_f64_e64 v[158:159], v[118:119], -v[158:159]
	v_add_f64_e32 v[170:171], v[140:141], v[116:117]
	v_add_f64_e32 v[172:173], v[142:143], v[104:105]
	v_add_f64_e64 v[180:181], v[140:141], -v[116:117]
	v_add_f64_e64 v[182:183], v[142:143], -v[104:105]
	;; [unrolled: 1-line block ×7, first 2 shown]
	v_add_f64_e32 v[118:119], v[118:119], v[156:157]
	v_add_f64_e32 v[156:157], v[164:165], v[160:161]
	v_mul_f64_e32 v[78:79], s[22:23], v[78:79]
	v_mul_f64_e32 v[102:103], s[22:23], v[102:103]
	v_mul_f64_e32 v[160:161], s[14:15], v[158:159]
	v_add_f64_e32 v[106:107], v[170:171], v[106:107]
	v_add_f64_e32 v[100:101], v[172:173], v[100:101]
	v_mul_f64_e32 v[170:171], s[18:19], v[180:181]
	v_mul_f64_e32 v[172:173], s[18:19], v[182:183]
	;; [unrolled: 1-line block ×5, first 2 shown]
	v_add_f64_e32 v[148:149], v[148:149], v[118:119]
	v_add_f64_e32 v[150:151], v[150:151], v[156:157]
	v_fma_f64 v[158:159], v[158:159], s[14:15], v[78:79]
	v_fma_f64 v[162:163], v[162:163], s[14:15], v[102:103]
	v_fma_f64 v[160:161], v[166:167], s[12:13], -v[160:161]
	v_fma_f64 v[78:79], v[166:167], s[16:17], -v[78:79]
	;; [unrolled: 1-line block ×3, first 2 shown]
	v_fma_f64 v[166:167], v[140:141], s[26:27], v[170:171]
	v_fma_f64 v[116:117], v[116:117], s[10:11], -v[170:171]
	v_fma_f64 v[104:105], v[104:105], s[10:11], -v[172:173]
	;; [unrolled: 1-line block ×4, first 2 shown]
	v_fma_f64 v[168:169], v[142:143], s[26:27], v[172:173]
	v_fma_f64 v[142:143], v[142:143], s[28:29], -v[182:183]
	v_fma_f64 v[118:119], v[118:119], s[24:25], v[148:149]
	v_fma_f64 v[156:157], v[156:157], s[24:25], v[150:151]
	;; [unrolled: 1-line block ×3, first 2 shown]
	s_delay_alu instid0(VALU_DEP_4) | instskip(NEXT) | instid1(VALU_DEP_4)
	v_fma_f64 v[142:143], v[100:101], s[20:21], v[142:143]
	v_add_f64_e32 v[158:159], v[158:159], v[118:119]
	v_add_f64_e32 v[160:161], v[160:161], v[118:119]
	;; [unrolled: 1-line block ×4, first 2 shown]
	v_fma_f64 v[102:103], v[106:107], s[20:21], v[116:117]
	v_fma_f64 v[116:117], v[100:101], s[20:21], v[104:105]
	v_add_f64_e32 v[162:163], v[162:163], v[156:157]
	v_add_f64_e32 v[164:165], v[164:165], v[156:157]
	v_fma_f64 v[156:157], v[106:107], s[20:21], v[166:167]
	v_fma_f64 v[166:167], v[100:101], s[20:21], v[168:169]
	v_add_f64_e32 v[104:105], v[142:143], v[78:79]
	v_add_f64_e64 v[106:107], v[118:119], -v[140:141]
	v_add_f64_e32 v[190:191], v[140:141], v[118:119]
	v_add_f64_e64 v[184:185], v[160:161], -v[116:117]
	v_add_f64_e32 v[100:101], v[116:117], v[160:161]
	v_add_f64_e32 v[116:117], v[130:131], v[138:139]
	;; [unrolled: 1-line block ×3, first 2 shown]
	v_add_f64_e64 v[138:139], v[130:131], -v[138:139]
	v_add_f64_e64 v[118:119], v[132:133], -v[76:77]
	v_add_f64_e32 v[130:131], v[126:127], v[134:135]
	v_add_f64_e32 v[132:133], v[128:129], v[136:137]
	v_add_f64_e64 v[182:183], v[162:163], -v[156:157]
	v_add_f64_e64 v[188:189], v[78:79], -v[142:143]
	v_add_f64_e32 v[194:195], v[156:157], v[162:163]
	v_add_f64_e64 v[134:135], v[126:127], -v[134:135]
	v_add_f64_e64 v[126:127], v[128:129], -v[136:137]
	v_add_f64_e32 v[76:77], v[108:109], v[122:123]
	v_add_f64_e32 v[78:79], v[110:111], v[124:125]
	v_add_f64_e64 v[128:129], v[122:123], -v[108:109]
	v_add_f64_e64 v[136:137], v[124:125], -v[110:111]
	v_add_f64_e32 v[180:181], v[166:167], v[158:159]
	v_add_f64_e32 v[186:187], v[102:103], v[164:165]
	v_add_f64_e64 v[102:103], v[164:165], -v[102:103]
	v_add_f64_e64 v[192:193], v[158:159], -v[166:167]
	ds_store_b128 v174, v[152:155]
	ds_store_b128 v174, v[176:179] offset:2880
	ds_store_b128 v174, v[196:199] offset:5760
	;; [unrolled: 1-line block ×13, first 2 shown]
	v_add_f64_e32 v[142:143], v[130:131], v[116:117]
	v_add_f64_e32 v[156:157], v[132:133], v[140:141]
	v_add_f64_e64 v[158:159], v[116:117], -v[76:77]
	v_add_f64_e64 v[160:161], v[140:141], -v[78:79]
	v_add_f64_e64 v[108:109], v[76:77], -v[130:131]
	v_add_f64_e64 v[122:123], v[78:79], -v[132:133]
	v_add_f64_e32 v[162:163], v[128:129], v[134:135]
	v_add_f64_e32 v[164:165], v[136:137], v[126:127]
	v_add_f64_e64 v[124:125], v[128:129], -v[134:135]
	v_add_f64_e64 v[110:111], v[136:137], -v[126:127]
	v_add_f64_e64 v[128:129], v[138:139], -v[128:129]
	v_add_f64_e64 v[136:137], v[118:119], -v[136:137]
	v_add_f64_e32 v[76:77], v[76:77], v[142:143]
	v_add_f64_e32 v[78:79], v[78:79], v[156:157]
	v_mul_f64_e32 v[170:171], s[22:23], v[160:161]
	v_add_f64_e32 v[168:169], v[162:163], v[138:139]
	v_add_f64_e32 v[166:167], v[164:165], v[118:119]
	v_mul_f64_e32 v[162:163], s[22:23], v[158:159]
	v_mul_f64_e32 v[172:173], s[26:27], v[128:129]
	;; [unrolled: 1-line block ×3, first 2 shown]
	v_add_f64_e32 v[144:145], v[144:145], v[76:77]
	v_add_f64_e32 v[146:147], v[146:147], v[78:79]
	s_delay_alu instid0(VALU_DEP_4) | instskip(NEXT) | instid1(VALU_DEP_4)
	v_fma_f64 v[136:137], v[124:125], s[18:19], v[172:173]
	v_fma_f64 v[200:201], v[110:111], s[18:19], v[164:165]
	s_delay_alu instid0(VALU_DEP_4) | instskip(NEXT) | instid1(VALU_DEP_4)
	v_fma_f64 v[158:159], v[76:77], s[24:25], v[144:145]
	v_fma_f64 v[160:161], v[78:79], s[24:25], v[146:147]
	v_fma_f64 v[76:77], v[108:109], s[14:15], v[162:163]
	v_fma_f64 v[78:79], v[122:123], s[14:15], v[170:171]
	v_fma_f64 v[156:157], v[168:169], s[20:21], v[136:137]
	v_fma_f64 v[136:137], v[166:167], s[20:21], v[200:201]
	s_delay_alu instid0(VALU_DEP_4) | instskip(NEXT) | instid1(VALU_DEP_4)
	v_add_f64_e32 v[128:129], v[76:77], v[158:159]
	v_add_f64_e32 v[142:143], v[78:79], v[160:161]
	s_delay_alu instid0(VALU_DEP_2) | instskip(NEXT) | instid1(VALU_DEP_2)
	v_add_f64_e64 v[76:77], v[128:129], -v[136:137]
	v_add_f64_e32 v[78:79], v[156:157], v[142:143]
	s_and_saveexec_b32 s1, s0
	s_cbranch_execz .LBB0_13
; %bb.12:
	v_add_f64_e64 v[80:81], v[134:135], -v[138:139]
	v_add_f64_e64 v[82:83], v[132:133], -v[140:141]
	v_mul_f64_e32 v[92:93], s[14:15], v[122:123]
	v_mul_f64_e32 v[94:95], s[18:19], v[124:125]
	v_add_f64_e64 v[96:97], v[130:131], -v[116:117]
	v_add_f64_e64 v[98:99], v[126:127], -v[118:119]
	v_mul_f64_e32 v[100:101], s[14:15], v[108:109]
	v_mul_f64_e32 v[102:103], s[18:19], v[110:111]
	s_mov_b32 s15, 0xbfebfeb5
	s_mov_b32 s14, s10
	v_mul_f64_e32 v[104:105], s[20:21], v[168:169]
	v_mul_f64_e32 v[106:107], s[20:21], v[166:167]
	s_wait_alu 0xfffe
	v_fma_f64 v[108:109], v[80:81], s[14:15], -v[172:173]
	v_fma_f64 v[110:111], v[82:83], s[16:17], -v[170:171]
	;; [unrolled: 1-line block ×8, first 2 shown]
	v_add_f64_e32 v[100:101], v[104:105], v[108:109]
	v_add_f64_e32 v[108:109], v[110:111], v[160:161]
	v_add_f64_e32 v[102:103], v[82:83], v[160:161]
	v_add_f64_e32 v[104:105], v[104:105], v[80:81]
	v_add_f64_e32 v[92:93], v[92:93], v[158:159]
	v_add_f64_e32 v[110:111], v[106:107], v[94:95]
	v_add_f64_e32 v[96:97], v[96:97], v[158:159]
	v_add_f64_e32 v[116:117], v[106:107], v[98:99]
	v_add_f64_e64 v[82:83], v[142:143], -v[156:157]
	v_add_f64_e32 v[80:81], v[136:137], v[128:129]
	v_add_f64_e64 v[106:107], v[108:109], -v[100:101]
	v_add_f64_e32 v[94:95], v[100:101], v[108:109]
	;; [unrolled: 2-line block ×3, first 2 shown]
	v_add_f64_e32 v[104:105], v[110:111], v[92:93]
	v_add_f64_e64 v[92:93], v[92:93], -v[110:111]
	v_add_f64_e64 v[100:101], v[96:97], -v[116:117]
	v_add_f64_e32 v[96:97], v[116:117], v[96:97]
	ds_store_b128 v174, v[144:147] offset:2016
	ds_store_b128 v174, v[80:83] offset:4896
	;; [unrolled: 1-line block ×7, first 2 shown]
.LBB0_13:
	s_wait_alu 0xfffe
	s_or_b32 exec_lo, exec_lo, s1
	global_wb scope:SCOPE_SE
	s_wait_storecnt_dscnt 0x0
	s_barrier_signal -1
	s_barrier_wait -1
	global_inv scope:SCOPE_SE
	global_load_b128 v[92:95], v[120:121], off offset:20160
	ds_load_b128 v[80:83], v174
	ds_load_b128 v[105:108], v174 offset:1008
	v_lshlrev_b32_e32 v104, 4, v175
	s_add_nc_u64 s[8:9], s[8:9], 0x4ec0
	ds_load_b128 v[98:101], v174 offset:10080
	ds_load_b128 v[132:135], v174 offset:16128
	;; [unrolled: 1-line block ×4, first 2 shown]
	v_lshlrev_b32_e32 v172, 5, v175
	ds_load_b128 v[156:159], v174 offset:17136
	ds_load_b128 v[116:119], v174 offset:5040
	;; [unrolled: 1-line block ×6, first 2 shown]
	s_wait_loadcnt_dscnt 0xb
	v_mul_f64_e32 v[96:97], v[82:83], v[94:95]
	v_mul_f64_e32 v[94:95], v[80:81], v[94:95]
	s_delay_alu instid0(VALU_DEP_2) | instskip(NEXT) | instid1(VALU_DEP_2)
	v_fma_f64 v[80:81], v[80:81], v[92:93], -v[96:97]
	v_fma_f64 v[82:83], v[82:83], v[92:93], v[94:95]
	global_load_b128 v[94:97], v104, s[8:9] offset:10080
	s_wait_loadcnt_dscnt 0x9
	v_mul_f64_e32 v[92:93], v[100:101], v[96:97]
	v_mul_f64_e32 v[96:97], v[98:99], v[96:97]
	s_delay_alu instid0(VALU_DEP_2) | instskip(NEXT) | instid1(VALU_DEP_2)
	v_fma_f64 v[92:93], v[98:99], v[94:95], -v[92:93]
	v_fma_f64 v[94:95], v[100:101], v[94:95], v[96:97]
	global_load_b128 v[98:101], v104, s[8:9] offset:1008
	s_wait_loadcnt 0x0
	v_mul_f64_e32 v[96:97], v[107:108], v[100:101]
	v_mul_f64_e32 v[100:101], v[105:106], v[100:101]
	s_delay_alu instid0(VALU_DEP_2) | instskip(NEXT) | instid1(VALU_DEP_2)
	v_fma_f64 v[96:97], v[105:106], v[98:99], -v[96:97]
	v_fma_f64 v[98:99], v[107:108], v[98:99], v[100:101]
	global_load_b128 v[100:103], v104, s[8:9] offset:11088
	ds_load_b128 v[105:108], v174 offset:11088
	s_wait_loadcnt_dscnt 0x0
	v_mul_f64_e32 v[109:110], v[107:108], v[102:103]
	v_mul_f64_e32 v[102:103], v[105:106], v[102:103]
	s_delay_alu instid0(VALU_DEP_2) | instskip(NEXT) | instid1(VALU_DEP_2)
	v_fma_f64 v[144:145], v[105:106], v[100:101], -v[109:110]
	v_fma_f64 v[146:147], v[107:108], v[100:101], v[102:103]
	global_load_b128 v[100:103], v104, s[8:9] offset:2016
	ds_load_b128 v[105:108], v174 offset:2016
	s_wait_loadcnt_dscnt 0x0
	;; [unrolled: 8-line block ×7, first 2 shown]
	v_mul_f64_e32 v[109:110], v[102:103], v[107:108]
	v_mul_f64_e32 v[107:108], v[100:101], v[107:108]
	s_delay_alu instid0(VALU_DEP_2) | instskip(NEXT) | instid1(VALU_DEP_2)
	v_fma_f64 v[100:101], v[100:101], v[105:106], -v[109:110]
	v_fma_f64 v[102:103], v[102:103], v[105:106], v[107:108]
	global_load_b128 v[105:108], v104, s[8:9] offset:5040
	s_wait_loadcnt 0x0
	v_mul_f64_e32 v[109:110], v[118:119], v[107:108]
	v_mul_f64_e32 v[120:121], v[116:117], v[107:108]
	s_delay_alu instid0(VALU_DEP_2) | instskip(NEXT) | instid1(VALU_DEP_2)
	v_fma_f64 v[107:108], v[116:117], v[105:106], -v[109:110]
	v_fma_f64 v[109:110], v[118:119], v[105:106], v[120:121]
	global_load_b128 v[116:119], v104, s[8:9] offset:15120
	ds_load_b128 v[120:123], v174 offset:15120
	s_wait_loadcnt_dscnt 0x0
	v_mul_f64_e32 v[105:106], v[122:123], v[118:119]
	v_mul_f64_e32 v[124:125], v[120:121], v[118:119]
	s_delay_alu instid0(VALU_DEP_2) | instskip(NEXT) | instid1(VALU_DEP_2)
	v_fma_f64 v[118:119], v[120:121], v[116:117], -v[105:106]
	v_fma_f64 v[120:121], v[122:123], v[116:117], v[124:125]
	global_load_b128 v[122:125], v104, s[8:9] offset:6048
	s_wait_loadcnt 0x0
	v_mul_f64_e32 v[105:106], v[128:129], v[124:125]
	v_mul_f64_e32 v[116:117], v[126:127], v[124:125]
	s_delay_alu instid0(VALU_DEP_2) | instskip(NEXT) | instid1(VALU_DEP_2)
	v_fma_f64 v[124:125], v[126:127], v[122:123], -v[105:106]
	v_fma_f64 v[126:127], v[128:129], v[122:123], v[116:117]
	global_load_b128 v[128:131], v104, s[8:9] offset:16128
	s_wait_loadcnt 0x0
	;; [unrolled: 7-line block ×8, first 2 shown]
	v_mul_f64_e32 v[104:105], v[182:183], v[142:143]
	v_mul_f64_e32 v[116:117], v[180:181], v[142:143]
	s_delay_alu instid0(VALU_DEP_2) | instskip(NEXT) | instid1(VALU_DEP_2)
	v_fma_f64 v[180:181], v[180:181], v[140:141], -v[104:105]
	v_fma_f64 v[182:183], v[182:183], v[140:141], v[116:117]
	ds_store_b128 v174, v[80:83]
	ds_store_b128 v174, v[92:95] offset:10080
	ds_store_b128 v174, v[96:99] offset:1008
	;; [unrolled: 1-line block ×19, first 2 shown]
	global_wb scope:SCOPE_SE
	s_wait_dscnt 0x0
	s_barrier_signal -1
	s_barrier_wait -1
	global_inv scope:SCOPE_SE
	ds_load_b128 v[80:83], v174
	ds_load_b128 v[92:95], v174 offset:10080
	ds_load_b128 v[96:99], v174 offset:1008
	;; [unrolled: 1-line block ×19, first 2 shown]
	global_wb scope:SCOPE_SE
	s_wait_dscnt 0x0
	s_barrier_signal -1
	s_barrier_wait -1
	global_inv scope:SCOPE_SE
	v_add_f64_e64 v[92:93], v[80:81], -v[92:93]
	v_add_f64_e64 v[94:95], v[82:83], -v[94:95]
	s_delay_alu instid0(VALU_DEP_2) | instskip(NEXT) | instid1(VALU_DEP_2)
	v_fma_f64 v[80:81], v[80:81], 2.0, -v[92:93]
	v_fma_f64 v[82:83], v[82:83], 2.0, -v[94:95]
	ds_store_b128 v172, v[92:95] offset:16
	ds_store_b128 v172, v[80:83]
	v_add_f64_e64 v[80:81], v[96:97], -v[100:101]
	v_add_f64_e64 v[82:83], v[98:99], -v[102:103]
	s_delay_alu instid0(VALU_DEP_2)
	v_fma_f64 v[92:93], v[96:97], 2.0, -v[80:81]
	scratch_load_b32 v96, off, off offset:628 th:TH_LOAD_LU ; 4-byte Folded Reload
	v_fma_f64 v[94:95], v[98:99], 2.0, -v[82:83]
	v_add_f64_e64 v[98:99], v[166:167], -v[170:171]
	s_wait_loadcnt 0x0
	ds_store_b128 v96, v[92:95]
	ds_store_b128 v96, v[80:83] offset:16
	scratch_load_b32 v96, off, off offset:636 th:TH_LOAD_LU ; 4-byte Folded Reload
	v_add_f64_e64 v[80:81], v[104:105], -v[108:109]
	v_add_f64_e64 v[82:83], v[106:107], -v[110:111]
	v_fma_f64 v[110:111], v[166:167], 2.0, -v[98:99]
	s_delay_alu instid0(VALU_DEP_3) | instskip(NEXT) | instid1(VALU_DEP_3)
	v_fma_f64 v[92:93], v[104:105], 2.0, -v[80:81]
	v_fma_f64 v[94:95], v[106:107], 2.0, -v[82:83]
	s_wait_loadcnt 0x0
	ds_store_b128 v96, v[92:95]
	ds_store_b128 v96, v[80:83] offset:16
	scratch_load_b32 v96, off, off offset:624 th:TH_LOAD_LU ; 4-byte Folded Reload
	v_add_f64_e64 v[80:81], v[116:117], -v[120:121]
	v_add_f64_e64 v[82:83], v[118:119], -v[122:123]
	s_delay_alu instid0(VALU_DEP_2) | instskip(NEXT) | instid1(VALU_DEP_2)
	v_fma_f64 v[92:93], v[116:117], 2.0, -v[80:81]
	v_fma_f64 v[94:95], v[118:119], 2.0, -v[82:83]
	s_wait_loadcnt 0x0
	ds_store_b128 v96, v[92:95]
	ds_store_b128 v96, v[80:83] offset:16
	scratch_load_b32 v96, off, off offset:620 th:TH_LOAD_LU ; 4-byte Folded Reload
	v_add_f64_e64 v[80:81], v[124:125], -v[128:129]
	v_add_f64_e64 v[82:83], v[126:127], -v[130:131]
	s_delay_alu instid0(VALU_DEP_2) | instskip(NEXT) | instid1(VALU_DEP_2)
	;; [unrolled: 9-line block ×4, first 2 shown]
	v_fma_f64 v[92:93], v[140:141], 2.0, -v[80:81]
	v_fma_f64 v[94:95], v[142:143], 2.0, -v[82:83]
	s_wait_loadcnt 0x0
	ds_store_b128 v96, v[92:95]
	ds_store_b128 v96, v[80:83] offset:16
	scratch_load_b32 v116, off, off offset:556 th:TH_LOAD_LU ; 4-byte Folded Reload
	v_add_f64_e64 v[80:81], v[148:149], -v[152:153]
	v_add_f64_e64 v[82:83], v[150:151], -v[154:155]
	v_add_f64_e64 v[92:93], v[156:157], -v[160:161]
	v_add_f64_e64 v[94:95], v[158:159], -v[162:163]
	v_add_f64_e64 v[96:97], v[164:165], -v[168:169]
	v_fma_f64 v[100:101], v[148:149], 2.0, -v[80:81]
	v_fma_f64 v[102:103], v[150:151], 2.0, -v[82:83]
	;; [unrolled: 1-line block ×5, first 2 shown]
	s_wait_loadcnt 0x0
	ds_store_b128 v116, v[100:103]
	ds_store_b128 v116, v[80:83] offset:16
	scratch_load_b32 v80, off, off offset:616 th:TH_LOAD_LU ; 4-byte Folded Reload
	s_wait_loadcnt 0x0
	ds_store_b128 v80, v[104:107]
	ds_store_b128 v80, v[92:95] offset:16
	scratch_load_b32 v80, off, off offset:552 th:TH_LOAD_LU ; 4-byte Folded Reload
	s_wait_loadcnt 0x0
	ds_store_b128 v80, v[108:111]
	ds_store_b128 v80, v[96:99] offset:16
	global_wb scope:SCOPE_SE
	s_wait_dscnt 0x0
	s_barrier_signal -1
	s_barrier_wait -1
	global_inv scope:SCOPE_SE
	ds_load_b128 v[80:83], v174 offset:13104
	ds_load_b128 v[92:95], v174 offset:15120
	s_clause 0x1
	scratch_load_b128 v[116:119], off, off offset:412 th:TH_LOAD_LU
	scratch_load_b128 v[120:123], off, off offset:388 th:TH_LOAD_LU
	ds_load_b128 v[96:99], v174 offset:17136
	ds_load_b128 v[100:103], v174 offset:10080
	s_wait_loadcnt_dscnt 0x103
	v_mul_f64_e32 v[104:105], v[118:119], v[82:83]
	v_mul_f64_e32 v[106:107], v[118:119], v[80:81]
	s_delay_alu instid0(VALU_DEP_2) | instskip(NEXT) | instid1(VALU_DEP_2)
	v_fma_f64 v[132:133], v[116:117], v[80:81], v[104:105]
	v_fma_f64 v[134:135], v[116:117], v[82:83], -v[106:107]
	ds_load_b128 v[80:83], v174 offset:12096
	scratch_load_b128 v[116:119], off, off offset:372 th:TH_LOAD_LU ; 16-byte Folded Reload
	s_wait_loadcnt_dscnt 0x103
	v_mul_f64_e32 v[108:109], v[122:123], v[94:95]
	v_mul_f64_e32 v[110:111], v[122:123], v[92:93]
	s_delay_alu instid0(VALU_DEP_2) | instskip(SKIP_2) | instid1(VALU_DEP_3)
	v_fma_f64 v[136:137], v[120:121], v[92:93], v[108:109]
	s_wait_dscnt 0x1
	v_mul_f64_e32 v[108:109], v[86:87], v[102:103]
	v_fma_f64 v[138:139], v[120:121], v[94:95], -v[110:111]
	ds_load_b128 v[92:95], v174 offset:14112
	v_mul_f64_e32 v[110:111], v[86:87], v[100:101]
	v_fma_f64 v[100:101], v[84:85], v[100:101], v[108:109]
	s_delay_alu instid0(VALU_DEP_2) | instskip(SKIP_3) | instid1(VALU_DEP_2)
	v_fma_f64 v[102:103], v[84:85], v[102:103], -v[110:111]
	s_wait_loadcnt 0x0
	v_mul_f64_e32 v[104:105], v[118:119], v[98:99]
	v_mul_f64_e32 v[106:107], v[118:119], v[96:97]
	v_fma_f64 v[140:141], v[116:117], v[96:97], v[104:105]
	s_delay_alu instid0(VALU_DEP_2)
	v_fma_f64 v[142:143], v[116:117], v[98:99], -v[106:107]
	ds_load_b128 v[96:99], v174 offset:16128
	s_wait_dscnt 0x2
	v_mul_f64_e32 v[104:105], v[86:87], v[82:83]
	v_mul_f64_e32 v[106:107], v[86:87], v[80:81]
	s_wait_dscnt 0x1
	v_mul_f64_e32 v[108:109], v[86:87], v[94:95]
	v_mul_f64_e32 v[110:111], v[86:87], v[92:93]
	s_delay_alu instid0(VALU_DEP_4) | instskip(NEXT) | instid1(VALU_DEP_4)
	v_fma_f64 v[144:145], v[84:85], v[80:81], v[104:105]
	v_fma_f64 v[146:147], v[84:85], v[82:83], -v[106:107]
	ds_load_b128 v[80:83], v174 offset:18144
	v_fma_f64 v[148:149], v[84:85], v[92:93], v[108:109]
	v_fma_f64 v[150:151], v[84:85], v[94:95], -v[110:111]
	s_wait_dscnt 0x1
	v_mul_f64_e32 v[104:105], v[86:87], v[98:99]
	v_mul_f64_e32 v[106:107], v[86:87], v[96:97]
	s_wait_dscnt 0x0
	v_mul_f64_e32 v[92:93], v[86:87], v[82:83]
	v_mul_f64_e32 v[86:87], v[86:87], v[80:81]
	s_delay_alu instid0(VALU_DEP_4) | instskip(NEXT) | instid1(VALU_DEP_4)
	v_fma_f64 v[152:153], v[84:85], v[96:97], v[104:105]
	v_fma_f64 v[154:155], v[84:85], v[98:99], -v[106:107]
	s_delay_alu instid0(VALU_DEP_4)
	v_fma_f64 v[156:157], v[84:85], v[80:81], v[92:93]
	scratch_load_b128 v[92:95], off, off offset:320 th:TH_LOAD_LU ; 16-byte Folded Reload
	v_fma_f64 v[158:159], v[84:85], v[82:83], -v[86:87]
	ds_load_b128 v[80:83], v174 offset:11088
	s_wait_loadcnt_dscnt 0x0
	v_mul_f64_e32 v[84:85], v[94:95], v[82:83]
	v_mul_f64_e32 v[86:87], v[94:95], v[80:81]
	scratch_load_b64 v[94:95], off, off offset:356 th:TH_LOAD_LU ; 8-byte Folded Reload
	s_wait_loadcnt 0x0
	v_fma_f64 v[162:163], v[94:95], v[82:83], -v[86:87]
	scratch_load_b64 v[86:87], off, off offset:344 th:TH_LOAD_LU ; 8-byte Folded Reload
	v_fma_f64 v[160:161], v[94:95], v[80:81], v[84:85]
	ds_load_b128 v[80:83], v174 offset:19152
	s_wait_loadcnt_dscnt 0x0
	v_mul_f64_e32 v[84:85], v[86:87], v[82:83]
	v_mul_f64_e32 v[86:87], v[86:87], v[80:81]
	s_delay_alu instid0(VALU_DEP_2) | instskip(NEXT) | instid1(VALU_DEP_2)
	v_fma_f64 v[164:165], v[92:93], v[80:81], v[84:85]
	v_fma_f64 v[166:167], v[92:93], v[82:83], -v[86:87]
	ds_load_b128 v[80:83], v174
	s_wait_dscnt 0x0
	v_add_f64_e64 v[84:85], v[80:81], -v[100:101]
	v_add_f64_e64 v[86:87], v[82:83], -v[102:103]
	ds_load_b128 v[92:95], v174 offset:1008
	ds_load_b128 v[96:99], v174 offset:2016
	;; [unrolled: 1-line block ×9, first 2 shown]
	global_wb scope:SCOPE_SE
	s_wait_dscnt 0x0
	s_barrier_signal -1
	s_barrier_wait -1
	global_inv scope:SCOPE_SE
	scratch_load_b32 v168, off, off offset:336 th:TH_LOAD_LU ; 4-byte Folded Reload
	v_add_f64_e64 v[140:141], v[120:121], -v[140:141]
	v_add_f64_e64 v[142:143], v[122:123], -v[142:143]
	v_fma_f64 v[80:81], v[80:81], 2.0, -v[84:85]
	v_fma_f64 v[82:83], v[82:83], 2.0, -v[86:87]
	s_wait_loadcnt 0x0
	ds_store_b128 v168, v[84:87] offset:32
	ds_store_b128 v168, v[80:83]
	v_add_f64_e64 v[80:81], v[92:93], -v[160:161]
	v_add_f64_e64 v[82:83], v[94:95], -v[162:163]
	v_fma_f64 v[120:121], v[120:121], 2.0, -v[140:141]
	v_fma_f64 v[122:123], v[122:123], 2.0, -v[142:143]
	s_delay_alu instid0(VALU_DEP_4)
	v_fma_f64 v[84:85], v[92:93], 2.0, -v[80:81]
	scratch_load_b32 v92, off, off offset:436 th:TH_LOAD_LU ; 4-byte Folded Reload
	v_fma_f64 v[86:87], v[94:95], 2.0, -v[82:83]
	s_wait_loadcnt 0x0
	ds_store_b128 v92, v[84:87]
	ds_store_b128 v92, v[80:83] offset:32
	scratch_load_b32 v92, off, off offset:432 th:TH_LOAD_LU ; 4-byte Folded Reload
	v_add_f64_e64 v[80:81], v[96:97], -v[144:145]
	v_add_f64_e64 v[82:83], v[98:99], -v[146:147]
	v_add_f64_e64 v[144:145], v[124:125], -v[156:157]
	v_add_f64_e64 v[146:147], v[126:127], -v[158:159]
	s_delay_alu instid0(VALU_DEP_4) | instskip(NEXT) | instid1(VALU_DEP_4)
	v_fma_f64 v[84:85], v[96:97], 2.0, -v[80:81]
	v_fma_f64 v[86:87], v[98:99], 2.0, -v[82:83]
	v_add_f64_e64 v[96:97], v[104:105], -v[148:149]
	v_add_f64_e64 v[98:99], v[106:107], -v[150:151]
	v_fma_f64 v[124:125], v[124:125], 2.0, -v[144:145]
	v_fma_f64 v[126:127], v[126:127], 2.0, -v[146:147]
	s_wait_loadcnt 0x0
	ds_store_b128 v92, v[84:87]
	ds_store_b128 v92, v[80:83] offset:32
	v_add_f64_e64 v[84:85], v[100:101], -v[132:133]
	v_add_f64_e64 v[86:87], v[102:103], -v[134:135]
	v_add_f64_e64 v[132:133], v[108:109], -v[136:137]
	v_add_f64_e64 v[134:135], v[110:111], -v[138:139]
	v_add_f64_e64 v[136:137], v[116:117], -v[152:153]
	v_add_f64_e64 v[138:139], v[118:119], -v[154:155]
	v_fma_f64 v[92:93], v[100:101], 2.0, -v[84:85]
	v_fma_f64 v[100:101], v[104:105], 2.0, -v[96:97]
	v_add_f64_e64 v[104:105], v[128:129], -v[164:165]
	v_fma_f64 v[94:95], v[102:103], 2.0, -v[86:87]
	v_fma_f64 v[102:103], v[106:107], 2.0, -v[98:99]
	;; [unrolled: 1-line block ×6, first 2 shown]
	v_add_f64_e64 v[106:107], v[130:131], -v[166:167]
	v_fma_f64 v[80:81], v[128:129], 2.0, -v[104:105]
	scratch_load_b32 v128, off, off offset:428 th:TH_LOAD_LU ; 4-byte Folded Reload
	s_wait_loadcnt 0x0
	ds_store_b128 v128, v[92:95]
	ds_store_b128 v128, v[84:87] offset:32
	scratch_load_b32 v84, off, off offset:408 th:TH_LOAD_LU ; 4-byte Folded Reload
	v_fma_f64 v[82:83], v[130:131], 2.0, -v[106:107]
	s_wait_loadcnt 0x0
	ds_store_b128 v84, v[100:103]
	ds_store_b128 v84, v[96:99] offset:32
	scratch_load_b32 v84, off, off offset:404 th:TH_LOAD_LU ; 4-byte Folded Reload
	s_wait_loadcnt 0x0
	ds_store_b128 v84, v[108:111]
	ds_store_b128 v84, v[132:135] offset:32
	scratch_load_b32 v84, off, off offset:368 th:TH_LOAD_LU ; 4-byte Folded Reload
	;; [unrolled: 4-line block ×5, first 2 shown]
	s_wait_loadcnt 0x0
	ds_store_b128 v84, v[80:83]
	ds_store_b128 v84, v[104:107] offset:32
	global_wb scope:SCOPE_SE
	s_wait_dscnt 0x0
	s_barrier_signal -1
	s_barrier_wait -1
	global_inv scope:SCOPE_SE
	ds_load_b128 v[148:151], v174
	ds_load_b128 v[120:123], v174 offset:6720
	ds_load_b128 v[108:111], v174 offset:13440
	;; [unrolled: 1-line block ×17, first 2 shown]
	s_and_saveexec_b32 s1, vcc_lo
	s_cbranch_execz .LBB0_15
; %bb.14:
	ds_load_b128 v[80:83], v174 offset:6048
	ds_load_b128 v[104:107], v174 offset:12768
	;; [unrolled: 1-line block ×3, first 2 shown]
.LBB0_15:
	s_wait_alu 0xfffe
	s_or_b32 exec_lo, exec_lo, s1
	scratch_load_b128 v[158:161], off, off offset:568 th:TH_LOAD_LU ; 16-byte Folded Reload
	s_mov_b32 s8, 0xe8584caa
	s_mov_b32 s9, 0xbfebb67a
	;; [unrolled: 1-line block ×3, first 2 shown]
	s_wait_alu 0xfffe
	s_mov_b32 s10, s8
	scratch_load_b128 v[162:165], off, off offset:520 th:TH_LOAD_LU ; 16-byte Folded Reload
	s_wait_loadcnt_dscnt 0x107
	v_mul_f64_e32 v[156:157], v[160:161], v[142:143]
	s_delay_alu instid0(VALU_DEP_1) | instskip(SKIP_1) | instid1(VALU_DEP_1)
	v_fma_f64 v[156:157], v[158:159], v[140:141], v[156:157]
	v_mul_f64_e32 v[140:141], v[160:161], v[140:141]
	v_fma_f64 v[140:141], v[158:159], v[142:143], -v[140:141]
	scratch_load_b128 v[158:161], off, off offset:592 th:TH_LOAD_LU ; 16-byte Folded Reload
	s_wait_loadcnt_dscnt 0x6
	v_mul_f64_e32 v[142:143], v[160:161], v[138:139]
	s_delay_alu instid0(VALU_DEP_1) | instskip(SKIP_1) | instid1(VALU_DEP_1)
	v_fma_f64 v[142:143], v[158:159], v[136:137], v[142:143]
	v_mul_f64_e32 v[136:137], v[160:161], v[136:137]
	v_fma_f64 v[136:137], v[158:159], v[138:139], -v[136:137]
	v_mul_f64_e32 v[138:139], v[90:91], v[122:123]
	scratch_load_b128 v[158:161], off, off offset:504 th:TH_LOAD_LU ; 16-byte Folded Reload
	v_fma_f64 v[138:139], v[88:89], v[120:121], v[138:139]
	v_mul_f64_e32 v[120:121], v[90:91], v[120:121]
	s_delay_alu instid0(VALU_DEP_1) | instskip(SKIP_3) | instid1(VALU_DEP_2)
	v_fma_f64 v[120:121], v[88:89], v[122:123], -v[120:121]
	s_wait_dscnt 0x4
	v_mul_f64_e32 v[122:123], v[90:91], v[134:135]
	v_mul_f64_e32 v[90:91], v[90:91], v[132:133]
	v_fma_f64 v[122:123], v[88:89], v[132:133], v[122:123]
	s_delay_alu instid0(VALU_DEP_2) | instskip(SKIP_2) | instid1(VALU_DEP_2)
	v_fma_f64 v[132:133], v[88:89], v[134:135], -v[90:91]
	v_mul_f64_e32 v[88:89], v[114:115], v[110:111]
	v_mul_f64_e32 v[90:91], v[114:115], v[108:109]
	v_fma_f64 v[88:89], v[112:113], v[108:109], v[88:89]
	s_delay_alu instid0(VALU_DEP_2)
	v_fma_f64 v[90:91], v[112:113], v[110:111], -v[90:91]
	s_wait_dscnt 0x3
	v_mul_f64_e32 v[108:109], v[114:115], v[126:127]
	v_mul_f64_e32 v[110:111], v[114:115], v[124:125]
	scratch_load_b64 v[114:115], off, off offset:584 th:TH_LOAD_LU ; 8-byte Folded Reload
	v_fma_f64 v[108:109], v[112:113], v[124:125], v[108:109]
	v_fma_f64 v[110:111], v[112:113], v[126:127], -v[110:111]
	scratch_load_b128 v[124:127], off, off offset:536 th:TH_LOAD_LU ; 16-byte Folded Reload
	s_wait_loadcnt_dscnt 0x100
	v_mul_f64_e32 v[112:113], v[114:115], v[130:131]
	v_mul_f64_e32 v[114:115], v[114:115], v[128:129]
	s_wait_loadcnt 0x0
	s_delay_alu instid0(VALU_DEP_2) | instskip(NEXT) | instid1(VALU_DEP_2)
	v_fma_f64 v[128:129], v[124:125], v[128:129], v[112:113]
	v_fma_f64 v[130:131], v[124:125], v[130:131], -v[114:115]
	v_mul_f64_e32 v[112:113], v[126:127], v[218:219]
	v_mul_f64_e32 v[114:115], v[126:127], v[216:217]
	;; [unrolled: 1-line block ×4, first 2 shown]
	s_delay_alu instid0(VALU_DEP_4) | instskip(NEXT) | instid1(VALU_DEP_4)
	v_fma_f64 v[112:113], v[160:161], v[216:217], v[112:113]
	v_fma_f64 v[114:115], v[160:161], v[218:219], -v[114:115]
	scratch_load_b128 v[158:161], off, off offset:472 th:TH_LOAD_LU ; 16-byte Folded Reload
	s_wait_loadcnt 0x0
	v_fma_f64 v[134:135], v[158:159], v[116:117], v[124:125]
	v_fma_f64 v[158:159], v[158:159], v[118:119], -v[126:127]
	s_clause 0x1
	scratch_load_b64 v[124:125], off, off offset:448 th:TH_LOAD_LU
	scratch_load_b64 v[126:127], off, off offset:560 th:TH_LOAD_LU
	v_mul_f64_e32 v[116:117], v[160:161], v[198:199]
	v_mul_f64_e32 v[118:119], v[160:161], v[196:197]
	s_wait_loadcnt 0x1
	s_delay_alu instid0(VALU_DEP_2) | instskip(NEXT) | instid1(VALU_DEP_2)
	v_fma_f64 v[116:117], v[124:125], v[196:197], v[116:117]
	v_fma_f64 v[118:119], v[124:125], v[198:199], -v[118:119]
	s_wait_loadcnt 0x0
	v_mul_f64_e32 v[124:125], v[126:127], v[78:79]
	v_mul_f64_e32 v[126:127], v[126:127], v[76:77]
	s_delay_alu instid0(VALU_DEP_2) | instskip(NEXT) | instid1(VALU_DEP_2)
	v_fma_f64 v[160:161], v[162:163], v[76:77], v[124:125]
	v_fma_f64 v[162:163], v[162:163], v[78:79], -v[126:127]
	v_mul_f64_e32 v[76:77], v[164:165], v[178:179]
	v_mul_f64_e32 v[78:79], v[164:165], v[176:177]
	scratch_load_b128 v[164:167], off, off offset:488 th:TH_LOAD_LU ; 16-byte Folded Reload
	s_wait_loadcnt 0x0
	v_fma_f64 v[124:125], v[166:167], v[176:177], v[76:77]
	v_fma_f64 v[126:127], v[166:167], v[178:179], -v[78:79]
	scratch_load_b128 v[166:169], off, off offset:456 th:TH_LOAD_LU ; 16-byte Folded Reload
	v_mul_f64_e32 v[76:77], v[164:165], v[106:107]
	v_mul_f64_e32 v[78:79], v[164:165], v[104:105]
	s_wait_loadcnt 0x0
	s_delay_alu instid0(VALU_DEP_2)
	v_fma_f64 v[164:165], v[166:167], v[104:105], v[76:77]
	scratch_load_b64 v[104:105], off, off offset:440 th:TH_LOAD_LU ; 8-byte Folded Reload
	v_mul_f64_e32 v[76:77], v[168:169], v[154:155]
	v_fma_f64 v[166:167], v[166:167], v[106:107], -v[78:79]
	v_mul_f64_e32 v[78:79], v[168:169], v[152:153]
	global_wb scope:SCOPE_SE
	s_wait_loadcnt 0x0
	s_barrier_signal -1
	s_barrier_wait -1
	global_inv scope:SCOPE_SE
	v_fma_f64 v[152:153], v[104:105], v[152:153], v[76:77]
	v_add_f64_e32 v[76:77], v[138:139], v[88:89]
	v_fma_f64 v[154:155], v[104:105], v[154:155], -v[78:79]
	s_delay_alu instid0(VALU_DEP_2) | instskip(SKIP_3) | instid1(VALU_DEP_3)
	v_fma_f64 v[104:105], v[76:77], -0.5, v[148:149]
	v_add_f64_e32 v[76:77], v[120:121], v[90:91]
	v_add_f64_e32 v[148:149], v[148:149], v[138:139]
	v_add_f64_e64 v[138:139], v[138:139], -v[88:89]
	v_fma_f64 v[106:107], v[76:77], -0.5, v[150:151]
	v_add_f64_e32 v[76:77], v[150:151], v[120:121]
	v_add_f64_e64 v[120:121], v[120:121], -v[90:91]
	s_delay_alu instid0(VALU_DEP_2) | instskip(SKIP_1) | instid1(VALU_DEP_3)
	v_add_f64_e32 v[78:79], v[76:77], v[90:91]
	v_add_f64_e32 v[76:77], v[148:149], v[88:89]
	v_fma_f64 v[88:89], v[120:121], s[8:9], v[104:105]
	s_wait_alu 0xfffe
	v_fma_f64 v[104:105], v[120:121], s[10:11], v[104:105]
	scratch_load_b32 v120, off, off offset:656 th:TH_LOAD_LU ; 4-byte Folded Reload
	v_fma_f64 v[90:91], v[138:139], s[10:11], v[106:107]
	v_fma_f64 v[106:107], v[138:139], s[8:9], v[106:107]
	s_wait_loadcnt 0x0
	ds_store_b128 v120, v[76:79]
	ds_store_b128 v120, v[88:91] offset:64
	ds_store_b128 v120, v[104:107] offset:128
	v_add_f64_e32 v[76:77], v[116:117], v[112:113]
	v_add_f64_e32 v[88:89], v[144:145], v[116:117]
	v_add_f64_e64 v[104:105], v[118:119], -v[114:115]
	s_delay_alu instid0(VALU_DEP_3) | instskip(SKIP_1) | instid1(VALU_DEP_1)
	v_fma_f64 v[90:91], v[76:77], -0.5, v[144:145]
	v_add_f64_e32 v[76:77], v[118:119], v[114:115]
	v_fma_f64 v[106:107], v[76:77], -0.5, v[146:147]
	v_add_f64_e32 v[76:77], v[146:147], v[118:119]
	v_add_f64_e64 v[118:119], v[156:157], -v[142:143]
	s_delay_alu instid0(VALU_DEP_2)
	v_add_f64_e32 v[78:79], v[76:77], v[114:115]
	v_add_f64_e32 v[76:77], v[88:89], v[112:113]
	v_add_f64_e64 v[112:113], v[116:117], -v[112:113]
	v_fma_f64 v[88:89], v[104:105], s[8:9], v[90:91]
	v_fma_f64 v[104:105], v[104:105], s[10:11], v[90:91]
	v_add_f64_e64 v[114:115], v[140:141], -v[136:137]
	s_delay_alu instid0(VALU_DEP_4)
	v_fma_f64 v[90:91], v[112:113], s[10:11], v[106:107]
	v_fma_f64 v[106:107], v[112:113], s[8:9], v[106:107]
	scratch_load_b32 v112, off, off offset:652 th:TH_LOAD_LU ; 4-byte Folded Reload
	s_wait_loadcnt 0x0
	ds_store_b128 v112, v[76:79]
	ds_store_b128 v112, v[88:91] offset:64
	ds_store_b128 v112, v[104:107] offset:128
	v_add_f64_e32 v[76:77], v[152:153], v[124:125]
	v_add_f64_e32 v[88:89], v[100:101], v[152:153]
	;; [unrolled: 1-line block ×3, first 2 shown]
	s_delay_alu instid0(VALU_DEP_3) | instskip(SKIP_2) | instid1(VALU_DEP_4)
	v_fma_f64 v[90:91], v[76:77], -0.5, v[100:101]
	v_add_f64_e32 v[76:77], v[154:155], v[126:127]
	v_add_f64_e64 v[100:101], v[154:155], -v[126:127]
	v_fma_f64 v[106:107], v[106:107], -0.5, v[98:99]
	v_add_f64_e32 v[98:99], v[98:99], v[140:141]
	s_delay_alu instid0(VALU_DEP_4) | instskip(SKIP_2) | instid1(VALU_DEP_4)
	v_fma_f64 v[104:105], v[76:77], -0.5, v[102:103]
	v_add_f64_e32 v[76:77], v[102:103], v[154:155]
	v_add_f64_e64 v[102:103], v[152:153], -v[124:125]
	v_add_f64_e32 v[98:99], v[98:99], v[136:137]
	v_add_f64_e64 v[136:137], v[164:165], -v[160:161]
	s_delay_alu instid0(VALU_DEP_4)
	v_add_f64_e32 v[78:79], v[76:77], v[126:127]
	v_add_f64_e32 v[76:77], v[88:89], v[124:125]
	v_fma_f64 v[88:89], v[100:101], s[8:9], v[90:91]
	v_fma_f64 v[100:101], v[100:101], s[10:11], v[90:91]
	v_fma_f64 v[90:91], v[102:103], s[10:11], v[104:105]
	v_fma_f64 v[102:103], v[102:103], s[8:9], v[104:105]
	v_add_f64_e32 v[104:105], v[156:157], v[142:143]
	v_add_f64_e64 v[124:125], v[132:133], -v[110:111]
	s_delay_alu instid0(VALU_DEP_2) | instskip(SKIP_1) | instid1(VALU_DEP_2)
	v_fma_f64 v[104:105], v[104:105], -0.5, v[96:97]
	v_add_f64_e32 v[96:97], v[96:97], v[156:157]
	v_fma_f64 v[112:113], v[114:115], s[8:9], v[104:105]
	v_fma_f64 v[116:117], v[114:115], s[10:11], v[104:105]
	v_add_f64_e32 v[104:105], v[122:123], v[108:109]
	v_fma_f64 v[114:115], v[118:119], s[10:11], v[106:107]
	v_fma_f64 v[118:119], v[118:119], s[8:9], v[106:107]
	v_add_f64_e32 v[106:107], v[132:133], v[110:111]
	v_add_f64_e32 v[96:97], v[96:97], v[142:143]
	v_fma_f64 v[104:105], v[104:105], -0.5, v[92:93]
	v_add_f64_e32 v[92:93], v[92:93], v[122:123]
	s_delay_alu instid0(VALU_DEP_4) | instskip(SKIP_1) | instid1(VALU_DEP_4)
	v_fma_f64 v[106:107], v[106:107], -0.5, v[94:95]
	v_add_f64_e32 v[94:95], v[94:95], v[132:133]
	v_fma_f64 v[120:121], v[124:125], s[8:9], v[104:105]
	s_delay_alu instid0(VALU_DEP_4)
	v_add_f64_e32 v[92:93], v[92:93], v[108:109]
	v_add_f64_e64 v[108:109], v[122:123], -v[108:109]
	v_fma_f64 v[124:125], v[124:125], s[10:11], v[104:105]
	v_add_f64_e32 v[104:105], v[134:135], v[128:129]
	v_add_f64_e32 v[94:95], v[94:95], v[110:111]
	v_add_f64_e64 v[110:111], v[134:135], -v[128:129]
	v_fma_f64 v[122:123], v[108:109], s[10:11], v[106:107]
	v_fma_f64 v[126:127], v[108:109], s[8:9], v[106:107]
	v_fma_f64 v[104:105], v[104:105], -0.5, v[84:85]
	v_add_f64_e32 v[106:107], v[158:159], v[130:131]
	v_add_f64_e32 v[84:85], v[84:85], v[134:135]
	v_add_f64_e64 v[108:109], v[158:159], -v[130:131]
	s_delay_alu instid0(VALU_DEP_3) | instskip(SKIP_1) | instid1(VALU_DEP_4)
	v_fma_f64 v[106:107], v[106:107], -0.5, v[86:87]
	v_add_f64_e32 v[86:87], v[86:87], v[158:159]
	v_add_f64_e32 v[84:85], v[84:85], v[128:129]
	s_delay_alu instid0(VALU_DEP_4)
	v_fma_f64 v[128:129], v[108:109], s[8:9], v[104:105]
	v_fma_f64 v[132:133], v[108:109], s[10:11], v[104:105]
	v_add_f64_e32 v[104:105], v[164:165], v[160:161]
	v_add_f64_e64 v[108:109], v[166:167], -v[162:163]
	v_fma_f64 v[134:135], v[110:111], s[8:9], v[106:107]
	v_add_f64_e32 v[86:87], v[86:87], v[130:131]
	v_fma_f64 v[130:131], v[110:111], s[10:11], v[106:107]
	v_fma_f64 v[106:107], v[104:105], -0.5, v[80:81]
	v_add_f64_e32 v[104:105], v[166:167], v[162:163]
	v_add_f64_e32 v[80:81], v[80:81], v[164:165]
	s_delay_alu instid0(VALU_DEP_2) | instskip(NEXT) | instid1(VALU_DEP_4)
	v_fma_f64 v[110:111], v[104:105], -0.5, v[82:83]
	v_fma_f64 v[104:105], v[108:109], s[8:9], v[106:107]
	v_fma_f64 v[108:109], v[108:109], s[10:11], v[106:107]
	v_add_f64_e32 v[82:83], v[82:83], v[166:167]
	v_add_f64_e32 v[80:81], v[80:81], v[160:161]
	v_fma_f64 v[106:107], v[136:137], s[10:11], v[110:111]
	v_fma_f64 v[110:111], v[136:137], s[8:9], v[110:111]
	scratch_load_b32 v136, off, off offset:648 th:TH_LOAD_LU ; 4-byte Folded Reload
	v_add_f64_e32 v[82:83], v[82:83], v[162:163]
	s_wait_loadcnt 0x0
	ds_store_b128 v136, v[76:79]
	ds_store_b128 v136, v[88:91] offset:64
	ds_store_b128 v136, v[100:103] offset:128
	scratch_load_b32 v76, off, off offset:644 th:TH_LOAD_LU ; 4-byte Folded Reload
	s_wait_loadcnt 0x0
	ds_store_b128 v76, v[96:99]
	ds_store_b128 v76, v[112:115] offset:64
	ds_store_b128 v76, v[116:119] offset:128
	scratch_load_b32 v76, off, off offset:640 th:TH_LOAD_LU ; 4-byte Folded Reload
	;; [unrolled: 5-line block ×3, first 2 shown]
	s_wait_loadcnt 0x0
	ds_store_b128 v76, v[84:87]
	ds_store_b128 v76, v[128:131] offset:64
	ds_store_b128 v76, v[132:135] offset:128
	s_and_saveexec_b32 s1, vcc_lo
	s_cbranch_execz .LBB0_17
; %bb.16:
	scratch_load_b32 v76, off, off offset:880 th:TH_LOAD_LU ; 4-byte Folded Reload
	s_wait_loadcnt 0x0
	v_mul_u32_u24_e32 v76, 12, v76
	s_delay_alu instid0(VALU_DEP_1) | instskip(NEXT) | instid1(VALU_DEP_1)
	v_or_b32_e32 v76, v76, v203
	v_lshlrev_b32_e32 v76, 4, v76
	ds_store_b128 v76, v[80:83]
	ds_store_b128 v76, v[104:107] offset:64
	ds_store_b128 v76, v[108:111] offset:128
.LBB0_17:
	s_wait_alu 0xfffe
	s_or_b32 exec_lo, exec_lo, s1
	global_wb scope:SCOPE_SE
	s_wait_dscnt 0x0
	s_barrier_signal -1
	s_barrier_wait -1
	global_inv scope:SCOPE_SE
	ds_load_b128 v[100:103], v174
	ds_load_b128 v[96:99], v174 offset:1008
	ds_load_b128 v[176:179], v174 offset:6720
	;; [unrolled: 1-line block ×17, first 2 shown]
	s_and_saveexec_b32 s1, vcc_lo
	s_cbranch_execz .LBB0_19
; %bb.18:
	ds_load_b128 v[80:83], v174 offset:6048
	ds_load_b128 v[104:107], v174 offset:12768
	;; [unrolled: 1-line block ×3, first 2 shown]
.LBB0_19:
	s_wait_alu 0xfffe
	s_or_b32 exec_lo, exec_lo, s1
	scratch_load_b128 v[160:163], off, off offset:660 th:TH_LOAD_LU ; 16-byte Folded Reload
	s_mov_b32 s10, 0xe8584caa
	s_mov_b32 s11, 0xbfebb67a
	;; [unrolled: 1-line block ×3, first 2 shown]
	s_wait_alu 0xfffe
	s_mov_b32 s8, s10
	s_wait_loadcnt_dscnt 0xf
	v_mul_f64_e32 v[156:157], v[162:163], v[178:179]
	v_mul_f64_e32 v[158:159], v[162:163], v[176:177]
	scratch_load_b128 v[162:165], off, off offset:676 th:TH_LOAD_LU ; 16-byte Folded Reload
	v_fma_f64 v[156:157], v[160:161], v[176:177], v[156:157]
	v_fma_f64 v[158:159], v[160:161], v[178:179], -v[158:159]
	s_wait_loadcnt_dscnt 0xd
	v_mul_f64_e32 v[160:161], v[164:165], v[154:155]
	s_delay_alu instid0(VALU_DEP_1) | instskip(SKIP_1) | instid1(VALU_DEP_1)
	v_fma_f64 v[160:161], v[162:163], v[152:153], v[160:161]
	v_mul_f64_e32 v[152:153], v[164:165], v[152:153]
	v_fma_f64 v[152:153], v[162:163], v[154:155], -v[152:153]
	scratch_load_b128 v[162:165], off, off offset:692 th:TH_LOAD_LU ; 16-byte Folded Reload
	s_wait_loadcnt 0x0
	v_mul_f64_e32 v[154:155], v[164:165], v[150:151]
	s_delay_alu instid0(VALU_DEP_1) | instskip(SKIP_1) | instid1(VALU_DEP_1)
	v_fma_f64 v[154:155], v[162:163], v[148:149], v[154:155]
	v_mul_f64_e32 v[148:149], v[164:165], v[148:149]
	v_fma_f64 v[148:149], v[162:163], v[150:151], -v[148:149]
	scratch_load_b128 v[162:165], off, off offset:708 th:TH_LOAD_LU ; 16-byte Folded Reload
	s_wait_loadcnt_dscnt 0xc
	v_mul_f64_e32 v[150:151], v[164:165], v[142:143]
	s_delay_alu instid0(VALU_DEP_1) | instskip(SKIP_1) | instid1(VALU_DEP_1)
	v_fma_f64 v[150:151], v[162:163], v[140:141], v[150:151]
	v_mul_f64_e32 v[140:141], v[164:165], v[140:141]
	v_fma_f64 v[140:141], v[162:163], v[142:143], -v[140:141]
	scratch_load_b128 v[162:165], off, off offset:724 th:TH_LOAD_LU ; 16-byte Folded Reload
	s_wait_loadcnt_dscnt 0x9
	;; [unrolled: 7-line block ×3, first 2 shown]
	v_mul_f64_e32 v[146:147], v[164:165], v[138:139]
	s_delay_alu instid0(VALU_DEP_1) | instskip(SKIP_1) | instid1(VALU_DEP_1)
	v_fma_f64 v[146:147], v[162:163], v[136:137], v[146:147]
	v_mul_f64_e32 v[136:137], v[164:165], v[136:137]
	v_fma_f64 v[136:137], v[162:163], v[138:139], -v[136:137]
	scratch_load_b128 v[162:165], off, off offset:756 th:TH_LOAD_LU ; 16-byte Folded Reload
	s_wait_loadcnt 0x0
	v_mul_f64_e32 v[138:139], v[164:165], v[134:135]
	s_delay_alu instid0(VALU_DEP_1) | instskip(SKIP_1) | instid1(VALU_DEP_1)
	v_fma_f64 v[138:139], v[162:163], v[132:133], v[138:139]
	v_mul_f64_e32 v[132:133], v[164:165], v[132:133]
	v_fma_f64 v[132:133], v[162:163], v[134:135], -v[132:133]
	scratch_load_b128 v[162:165], off, off offset:772 th:TH_LOAD_LU ; 16-byte Folded Reload
	s_wait_loadcnt_dscnt 0x6
	v_mul_f64_e32 v[134:135], v[164:165], v[126:127]
	s_delay_alu instid0(VALU_DEP_1) | instskip(SKIP_1) | instid1(VALU_DEP_1)
	v_fma_f64 v[134:135], v[162:163], v[124:125], v[134:135]
	v_mul_f64_e32 v[124:125], v[164:165], v[124:125]
	v_fma_f64 v[124:125], v[162:163], v[126:127], -v[124:125]
	scratch_load_b128 v[162:165], off, off offset:788 th:TH_LOAD_LU ; 16-byte Folded Reload
	s_wait_loadcnt_dscnt 0x3
	;; [unrolled: 7-line block ×3, first 2 shown]
	v_mul_f64_e32 v[130:131], v[164:165], v[122:123]
	s_delay_alu instid0(VALU_DEP_1) | instskip(SKIP_1) | instid1(VALU_DEP_1)
	v_fma_f64 v[130:131], v[162:163], v[120:121], v[130:131]
	v_mul_f64_e32 v[120:121], v[164:165], v[120:121]
	v_fma_f64 v[120:121], v[162:163], v[122:123], -v[120:121]
	scratch_load_b128 v[162:165], off, off offset:820 th:TH_LOAD_LU ; 16-byte Folded Reload
	global_wb scope:SCOPE_SE
	s_wait_loadcnt_dscnt 0x0
	s_barrier_signal -1
	s_barrier_wait -1
	global_inv scope:SCOPE_SE
	v_mul_f64_e32 v[122:123], v[164:165], v[118:119]
	s_delay_alu instid0(VALU_DEP_1) | instskip(SKIP_1) | instid1(VALU_DEP_1)
	v_fma_f64 v[122:123], v[162:163], v[116:117], v[122:123]
	v_mul_f64_e32 v[116:117], v[164:165], v[116:117]
	v_fma_f64 v[162:163], v[162:163], v[118:119], -v[116:117]
	v_mul_f64_e32 v[116:117], v[206:207], v[114:115]
	s_delay_alu instid0(VALU_DEP_1) | instskip(SKIP_2) | instid1(VALU_DEP_2)
	v_fma_f64 v[164:165], v[204:205], v[112:113], v[116:117]
	v_mul_f64_e32 v[112:113], v[206:207], v[112:113]
	v_add_f64_e64 v[116:117], v[158:159], -v[152:153]
	v_fma_f64 v[166:167], v[204:205], v[114:115], -v[112:113]
	v_mul_f64_e32 v[112:113], v[210:211], v[106:107]
	s_delay_alu instid0(VALU_DEP_1) | instskip(SKIP_1) | instid1(VALU_DEP_1)
	v_fma_f64 v[112:113], v[208:209], v[104:105], v[112:113]
	v_mul_f64_e32 v[104:105], v[210:211], v[104:105]
	v_fma_f64 v[114:115], v[208:209], v[106:107], -v[104:105]
	v_mul_f64_e32 v[104:105], v[214:215], v[110:111]
	v_mul_f64_e32 v[106:107], v[214:215], v[108:109]
	s_delay_alu instid0(VALU_DEP_2) | instskip(SKIP_1) | instid1(VALU_DEP_3)
	v_fma_f64 v[104:105], v[212:213], v[108:109], v[104:105]
	v_add_f64_e32 v[108:109], v[156:157], v[160:161]
	v_fma_f64 v[106:107], v[212:213], v[110:111], -v[106:107]
	s_delay_alu instid0(VALU_DEP_2) | instskip(SKIP_2) | instid1(VALU_DEP_2)
	v_fma_f64 v[110:111], v[108:109], -0.5, v[100:101]
	v_add_f64_e32 v[108:109], v[158:159], v[152:153]
	v_add_f64_e32 v[100:101], v[100:101], v[156:157]
	v_fma_f64 v[118:119], v[108:109], -0.5, v[102:103]
	v_add_f64_e32 v[102:103], v[102:103], v[158:159]
	v_fma_f64 v[108:109], v[116:117], s[10:11], v[110:111]
	s_wait_alu 0xfffe
	v_fma_f64 v[116:117], v[116:117], s[8:9], v[110:111]
	v_add_f64_e32 v[100:101], v[100:101], v[160:161]
	s_delay_alu instid0(VALU_DEP_4) | instskip(SKIP_1) | instid1(VALU_DEP_1)
	v_add_f64_e32 v[102:103], v[102:103], v[152:153]
	v_add_f64_e64 v[152:153], v[156:157], -v[160:161]
	v_fma_f64 v[110:111], v[152:153], s[8:9], v[118:119]
	v_fma_f64 v[118:119], v[152:153], s[10:11], v[118:119]
	scratch_load_b32 v152, off, off offset:856 th:TH_LOAD_LU ; 4-byte Folded Reload
	s_wait_loadcnt 0x0
	ds_store_b128 v152, v[100:103]
	ds_store_b128 v152, v[108:111] offset:192
	ds_store_b128 v152, v[116:119] offset:384
	v_add_f64_e32 v[100:101], v[154:155], v[150:151]
	v_add_f64_e64 v[108:109], v[148:149], -v[140:141]
	v_add_f64_e64 v[116:117], v[154:155], -v[150:151]
	;; [unrolled: 1-line block ×3, first 2 shown]
	s_delay_alu instid0(VALU_DEP_4) | instskip(SKIP_2) | instid1(VALU_DEP_2)
	v_fma_f64 v[102:103], v[100:101], -0.5, v[96:97]
	v_add_f64_e32 v[100:101], v[148:149], v[140:141]
	v_add_f64_e32 v[96:97], v[96:97], v[154:155]
	v_fma_f64 v[110:111], v[100:101], -0.5, v[98:99]
	s_delay_alu instid0(VALU_DEP_4)
	v_fma_f64 v[100:101], v[108:109], s[10:11], v[102:103]
	v_fma_f64 v[108:109], v[108:109], s[8:9], v[102:103]
	v_add_f64_e32 v[98:99], v[98:99], v[148:149]
	v_add_f64_e32 v[96:97], v[96:97], v[150:151]
	v_fma_f64 v[102:103], v[116:117], s[8:9], v[110:111]
	v_fma_f64 v[110:111], v[116:117], s[10:11], v[110:111]
	scratch_load_b32 v116, off, off offset:860 th:TH_LOAD_LU ; 4-byte Folded Reload
	v_add_f64_e32 v[98:99], v[98:99], v[140:141]
	s_wait_loadcnt 0x0
	ds_store_b128 v116, v[96:99]
	ds_store_b128 v116, v[100:103] offset:192
	ds_store_b128 v116, v[108:111] offset:384
	v_add_f64_e32 v[96:97], v[142:143], v[146:147]
	v_add_f64_e64 v[108:109], v[144:145], -v[136:137]
	v_add_f64_e64 v[110:111], v[142:143], -v[146:147]
	;; [unrolled: 1-line block ×3, first 2 shown]
	s_delay_alu instid0(VALU_DEP_4) | instskip(SKIP_2) | instid1(VALU_DEP_2)
	v_fma_f64 v[100:101], v[96:97], -0.5, v[92:93]
	v_add_f64_e32 v[96:97], v[144:145], v[136:137]
	v_add_f64_e32 v[92:93], v[92:93], v[142:143]
	v_fma_f64 v[102:103], v[96:97], -0.5, v[94:95]
	s_delay_alu instid0(VALU_DEP_4)
	v_fma_f64 v[96:97], v[108:109], s[10:11], v[100:101]
	v_fma_f64 v[100:101], v[108:109], s[8:9], v[100:101]
	scratch_load_b32 v108, off, off offset:852 th:TH_LOAD_LU ; 4-byte Folded Reload
	v_add_f64_e32 v[94:95], v[94:95], v[144:145]
	v_add_f64_e32 v[92:93], v[92:93], v[146:147]
	v_fma_f64 v[98:99], v[110:111], s[8:9], v[102:103]
	v_fma_f64 v[102:103], v[110:111], s[10:11], v[102:103]
	s_delay_alu instid0(VALU_DEP_4)
	v_add_f64_e32 v[94:95], v[94:95], v[136:137]
	s_wait_loadcnt 0x0
	ds_store_b128 v108, v[92:95]
	ds_store_b128 v108, v[96:99] offset:192
	v_add_f64_e32 v[92:93], v[138:139], v[134:135]
	ds_store_b128 v108, v[100:103] offset:384
	v_add_f64_e32 v[94:95], v[132:133], v[124:125]
	v_add_f64_e32 v[96:97], v[126:127], v[130:131]
	;; [unrolled: 1-line block ×4, first 2 shown]
	v_add_f64_e64 v[108:109], v[132:133], -v[124:125]
	v_add_f64_e32 v[138:139], v[114:115], v[106:107]
	v_fma_f64 v[102:103], v[92:93], -0.5, v[84:85]
	v_add_f64_e32 v[92:93], v[122:123], v[164:165]
	v_add_f64_e32 v[84:85], v[86:87], v[132:133]
	v_fma_f64 v[110:111], v[94:95], -0.5, v[86:87]
	v_add_f64_e32 v[86:87], v[88:89], v[126:127]
	v_fma_f64 v[88:89], v[96:97], -0.5, v[88:89]
	v_fma_f64 v[136:137], v[98:99], -0.5, v[90:91]
	v_add_f64_e32 v[90:91], v[90:91], v[128:129]
	v_add_f64_e32 v[98:99], v[78:79], v[162:163]
	v_add_f64_e64 v[132:133], v[122:123], -v[164:165]
	v_add_f64_e32 v[96:97], v[76:77], v[122:123]
	v_fma_f64 v[140:141], v[92:93], -0.5, v[76:77]
	v_add_f64_e32 v[92:93], v[162:163], v[166:167]
	v_add_f64_e32 v[76:77], v[100:101], v[134:135]
	v_fma_f64 v[100:101], v[108:109], s[10:11], v[102:103]
	v_fma_f64 v[108:109], v[108:109], s[8:9], v[102:103]
	;; [unrolled: 1-line block ×3, first 2 shown]
	v_add_f64_e32 v[94:95], v[90:91], v[120:121]
	v_fma_f64 v[110:111], v[116:117], s[10:11], v[110:111]
	v_fma_f64 v[116:117], v[118:119], s[10:11], v[88:89]
	;; [unrolled: 1-line block ×3, first 2 shown]
	v_add_f64_e32 v[134:135], v[112:113], v[104:105]
	v_add_f64_e64 v[90:91], v[112:113], -v[104:105]
	v_fma_f64 v[88:89], v[138:139], -0.5, v[82:83]
	v_add_f64_e32 v[96:97], v[96:97], v[164:165]
	v_add_f64_e32 v[98:99], v[98:99], v[166:167]
	v_fma_f64 v[142:143], v[92:93], -0.5, v[78:79]
	v_add_f64_e32 v[78:79], v[84:85], v[124:125]
	v_add_f64_e64 v[124:125], v[126:127], -v[130:131]
	v_add_f64_e64 v[126:127], v[162:163], -v[166:167]
	v_add_f64_e32 v[92:93], v[86:87], v[130:131]
	v_add_f64_e64 v[84:85], v[114:115], -v[106:107]
	v_fma_f64 v[86:87], v[134:135], -0.5, v[80:81]
	v_fma_f64 v[130:131], v[132:133], s[10:11], v[142:143]
	v_fma_f64 v[118:119], v[124:125], s[8:9], v[136:137]
	;; [unrolled: 1-line block ×6, first 2 shown]
	scratch_load_b32 v132, off, off offset:848 th:TH_LOAD_LU ; 4-byte Folded Reload
	s_wait_loadcnt 0x0
	ds_store_b128 v132, v[76:79]
	ds_store_b128 v132, v[100:103] offset:192
	ds_store_b128 v132, v[108:111] offset:384
	scratch_load_b32 v100, off, off offset:844 th:TH_LOAD_LU ; 4-byte Folded Reload
	v_fma_f64 v[76:77], v[84:85], s[8:9], v[86:87]
	v_fma_f64 v[78:79], v[90:91], s[10:11], v[88:89]
	s_wait_loadcnt 0x0
	ds_store_b128 v100, v[92:95]
	ds_store_b128 v100, v[116:119] offset:192
	ds_store_b128 v100, v[120:123] offset:384
	scratch_load_b32 v92, off, off offset:840 th:TH_LOAD_LU ; 4-byte Folded Reload
	s_wait_loadcnt 0x0
	ds_store_b128 v92, v[96:99]
	ds_store_b128 v92, v[124:127] offset:192
	ds_store_b128 v92, v[128:131] offset:384
	s_and_saveexec_b32 s1, vcc_lo
	s_cbranch_execz .LBB0_21
; %bb.20:
	v_mul_f64_e32 v[90:91], s[8:9], v[90:91]
	v_add_f64_e32 v[80:81], v[80:81], v[112:113]
	v_mul_f64_e32 v[84:85], s[8:9], v[84:85]
	v_add_f64_e32 v[92:93], v[82:83], v[114:115]
	s_delay_alu instid0(VALU_DEP_4) | instskip(NEXT) | instid1(VALU_DEP_4)
	v_add_f64_e32 v[82:83], v[90:91], v[88:89]
	v_add_f64_e32 v[88:89], v[80:81], v[104:105]
	s_delay_alu instid0(VALU_DEP_4) | instskip(SKIP_4) | instid1(VALU_DEP_1)
	v_add_f64_e64 v[80:81], v[86:87], -v[84:85]
	scratch_load_b32 v84, off, off offset:836 th:TH_LOAD_LU ; 4-byte Folded Reload
	v_add_f64_e32 v[90:91], v[92:93], v[106:107]
	s_wait_loadcnt 0x0
	v_and_b32_e32 v84, 0xffff, v84
	v_lshlrev_b32_e32 v84, 4, v84
	ds_store_b128 v84, v[88:91]
	ds_store_b128 v84, v[80:83] offset:192
	ds_store_b128 v84, v[76:79] offset:384
.LBB0_21:
	s_wait_alu 0xfffe
	s_or_b32 exec_lo, exec_lo, s1
	global_wb scope:SCOPE_SE
	s_wait_dscnt 0x0
	s_barrier_signal -1
	s_barrier_wait -1
	global_inv scope:SCOPE_SE
	ds_load_b128 v[80:83], v174 offset:4032
	s_mov_b32 s12, 0x134454ff
	s_mov_b32 s13, 0xbfee6f0e
	;; [unrolled: 1-line block ×3, first 2 shown]
	s_wait_alu 0xfffe
	s_mov_b32 s14, s12
	s_mov_b32 s8, 0x4755a5e
	;; [unrolled: 1-line block ×4, first 2 shown]
	s_wait_alu 0xfffe
	s_mov_b32 s10, s8
	s_mov_b32 s16, 0x372fe950
	;; [unrolled: 1-line block ×3, first 2 shown]
	s_wait_dscnt 0x0
	v_mul_f64_e32 v[84:85], v[222:223], v[82:83]
	s_delay_alu instid0(VALU_DEP_1) | instskip(SKIP_1) | instid1(VALU_DEP_1)
	v_fma_f64 v[112:113], v[220:221], v[80:81], v[84:85]
	v_mul_f64_e32 v[80:81], v[222:223], v[80:81]
	v_fma_f64 v[114:115], v[220:221], v[82:83], -v[80:81]
	ds_load_b128 v[80:83], v174 offset:8064
	s_wait_dscnt 0x0
	v_mul_f64_e32 v[84:85], v[242:243], v[82:83]
	s_delay_alu instid0(VALU_DEP_1) | instskip(SKIP_1) | instid1(VALU_DEP_1)
	v_fma_f64 v[118:119], v[240:241], v[80:81], v[84:85]
	v_mul_f64_e32 v[80:81], v[242:243], v[80:81]
	v_fma_f64 v[120:121], v[240:241], v[82:83], -v[80:81]
	ds_load_b128 v[80:83], v174 offset:12096
	s_wait_dscnt 0x0
	v_mul_f64_e32 v[84:85], v[238:239], v[82:83]
	s_delay_alu instid0(VALU_DEP_1) | instskip(SKIP_1) | instid1(VALU_DEP_2)
	v_fma_f64 v[122:123], v[236:237], v[80:81], v[84:85]
	v_mul_f64_e32 v[80:81], v[238:239], v[80:81]
	v_add_f64_e64 v[136:137], v[118:119], -v[122:123]
	s_delay_alu instid0(VALU_DEP_2) | instskip(SKIP_4) | instid1(VALU_DEP_2)
	v_fma_f64 v[116:117], v[236:237], v[82:83], -v[80:81]
	ds_load_b128 v[80:83], v174 offset:16128
	s_wait_dscnt 0x0
	v_mul_f64_e32 v[84:85], v[234:235], v[80:81]
	v_add_f64_e64 v[132:133], v[120:121], -v[116:117]
	v_fma_f64 v[124:125], v[232:233], v[82:83], -v[84:85]
	v_mul_f64_e32 v[82:83], v[234:235], v[82:83]
	s_delay_alu instid0(VALU_DEP_2) | instskip(NEXT) | instid1(VALU_DEP_2)
	v_add_f64_e64 v[134:135], v[114:115], -v[124:125]
	v_fma_f64 v[126:127], v[232:233], v[80:81], v[82:83]
	ds_load_b128 v[80:83], v174 offset:5040
	s_wait_dscnt 0x0
	v_mul_f64_e32 v[84:85], v[230:231], v[82:83]
	v_add_f64_e64 v[138:139], v[112:113], -v[126:127]
	s_delay_alu instid0(VALU_DEP_2) | instskip(SKIP_1) | instid1(VALU_DEP_1)
	v_fma_f64 v[98:99], v[228:229], v[80:81], v[84:85]
	v_mul_f64_e32 v[80:81], v[230:231], v[80:81]
	v_fma_f64 v[96:97], v[228:229], v[82:83], -v[80:81]
	ds_load_b128 v[80:83], v174 offset:9072
	s_wait_dscnt 0x0
	v_mul_f64_e32 v[84:85], v[226:227], v[82:83]
	s_delay_alu instid0(VALU_DEP_1) | instskip(SKIP_1) | instid1(VALU_DEP_1)
	v_fma_f64 v[102:103], v[224:225], v[80:81], v[84:85]
	v_mul_f64_e32 v[80:81], v[226:227], v[80:81]
	v_fma_f64 v[104:105], v[224:225], v[82:83], -v[80:81]
	ds_load_b128 v[80:83], v174 offset:13104
	s_wait_dscnt 0x0
	v_mul_f64_e32 v[84:85], v[246:247], v[82:83]
	s_delay_alu instid0(VALU_DEP_1) | instskip(SKIP_1) | instid1(VALU_DEP_1)
	;; [unrolled: 7-line block ×3, first 2 shown]
	v_fma_f64 v[108:109], v[248:249], v[82:83], -v[84:85]
	v_mul_f64_e32 v[82:83], v[250:251], v[82:83]
	v_fma_f64 v[110:111], v[248:249], v[80:81], v[82:83]
	ds_load_b128 v[80:83], v174 offset:6048
	s_wait_dscnt 0x0
	v_mul_f64_e32 v[84:85], v[254:255], v[82:83]
	s_delay_alu instid0(VALU_DEP_1) | instskip(SKIP_1) | instid1(VALU_DEP_1)
	v_fma_f64 v[86:87], v[252:253], v[80:81], v[84:85]
	v_mul_f64_e32 v[80:81], v[254:255], v[80:81]
	v_fma_f64 v[84:85], v[252:253], v[82:83], -v[80:81]
	ds_load_b128 v[80:83], v174 offset:10080
	s_wait_dscnt 0x0
	v_mul_f64_e32 v[88:89], v[2:3], v[82:83]
	v_mul_f64_e32 v[2:3], v[2:3], v[80:81]
	s_delay_alu instid0(VALU_DEP_2) | instskip(NEXT) | instid1(VALU_DEP_2)
	v_fma_f64 v[88:89], v[0:1], v[80:81], v[88:89]
	v_fma_f64 v[90:91], v[0:1], v[82:83], -v[2:3]
	ds_load_b128 v[0:3], v174 offset:14112
	s_wait_dscnt 0x0
	v_mul_f64_e32 v[80:81], v[6:7], v[2:3]
	s_delay_alu instid0(VALU_DEP_1) | instskip(SKIP_1) | instid1(VALU_DEP_1)
	v_fma_f64 v[92:93], v[4:5], v[0:1], v[80:81]
	v_mul_f64_e32 v[0:1], v[6:7], v[0:1]
	v_fma_f64 v[4:5], v[4:5], v[2:3], -v[0:1]
	ds_load_b128 v[0:3], v174 offset:18144
	s_wait_dscnt 0x0
	v_mul_f64_e32 v[6:7], v[10:11], v[2:3]
	s_delay_alu instid0(VALU_DEP_1) | instskip(SKIP_1) | instid1(VALU_DEP_1)
	v_fma_f64 v[6:7], v[8:9], v[0:1], v[6:7]
	v_mul_f64_e32 v[0:1], v[10:11], v[0:1]
	;; [unrolled: 7-line block ×5, first 2 shown]
	v_fma_f64 v[24:25], v[32:33], v[2:3], -v[0:1]
	ds_load_b128 v[0:3], v174 offset:19152
	s_wait_dscnt 0x0
	v_mul_f64_e32 v[20:21], v[30:31], v[2:3]
	s_delay_alu instid0(VALU_DEP_1) | instskip(SKIP_2) | instid1(VALU_DEP_2)
	v_fma_f64 v[32:33], v[28:29], v[0:1], v[20:21]
	v_mul_f64_e32 v[0:1], v[30:31], v[0:1]
	v_add_f64_e32 v[20:21], v[112:113], v[126:127]
	v_fma_f64 v[28:29], v[28:29], v[2:3], -v[0:1]
	v_add_f64_e64 v[0:1], v[118:119], -v[112:113]
	v_add_f64_e64 v[2:3], v[122:123], -v[126:127]
	s_delay_alu instid0(VALU_DEP_1) | instskip(SKIP_2) | instid1(VALU_DEP_1)
	v_add_f64_e32 v[30:31], v[0:1], v[2:3]
	v_add_f64_e64 v[0:1], v[120:121], -v[114:115]
	v_add_f64_e64 v[2:3], v[116:117], -v[124:125]
	v_add_f64_e32 v[34:35], v[0:1], v[2:3]
	ds_load_b128 v[0:3], v174
	s_wait_dscnt 0x0
	v_fma_f64 v[128:129], v[20:21], -0.5, v[0:1]
	v_add_f64_e32 v[20:21], v[114:115], v[124:125]
	s_delay_alu instid0(VALU_DEP_1) | instskip(NEXT) | instid1(VALU_DEP_3)
	v_fma_f64 v[130:131], v[20:21], -0.5, v[2:3]
	v_fma_f64 v[20:21], v[132:133], s[14:15], v[128:129]
	v_fma_f64 v[128:129], v[132:133], s[12:13], v[128:129]
	s_delay_alu instid0(VALU_DEP_3) | instskip(SKIP_1) | instid1(VALU_DEP_4)
	v_fma_f64 v[22:23], v[136:137], s[12:13], v[130:131]
	v_fma_f64 v[130:131], v[136:137], s[14:15], v[130:131]
	;; [unrolled: 1-line block ×3, first 2 shown]
	s_wait_alu 0xfffe
	s_delay_alu instid0(VALU_DEP_4) | instskip(NEXT) | instid1(VALU_DEP_4)
	v_fma_f64 v[128:129], v[134:135], s[10:11], v[128:129]
	v_fma_f64 v[22:23], v[138:139], s[10:11], v[22:23]
	s_delay_alu instid0(VALU_DEP_4) | instskip(NEXT) | instid1(VALU_DEP_4)
	v_fma_f64 v[130:131], v[138:139], s[8:9], v[130:131]
	v_fma_f64 v[20:21], v[30:31], s[16:17], v[20:21]
	s_delay_alu instid0(VALU_DEP_4) | instskip(SKIP_4) | instid1(VALU_DEP_4)
	v_fma_f64 v[128:129], v[30:31], s[16:17], v[128:129]
	v_add_f64_e32 v[30:31], v[118:119], v[122:123]
	v_fma_f64 v[22:23], v[34:35], s[16:17], v[22:23]
	v_fma_f64 v[130:131], v[34:35], s[16:17], v[130:131]
	v_add_f64_e32 v[34:35], v[120:121], v[116:117]
	v_fma_f64 v[30:31], v[30:31], -0.5, v[0:1]
	v_add_f64_e32 v[0:1], v[0:1], v[112:113]
	v_add_f64_e64 v[112:113], v[112:113], -v[118:119]
	s_delay_alu instid0(VALU_DEP_4) | instskip(SKIP_4) | instid1(VALU_DEP_4)
	v_fma_f64 v[34:35], v[34:35], -0.5, v[2:3]
	v_add_f64_e32 v[2:3], v[2:3], v[114:115]
	v_add_f64_e64 v[114:115], v[114:115], -v[120:121]
	v_add_f64_e32 v[0:1], v[0:1], v[118:119]
	v_add_f64_e64 v[118:119], v[126:127], -v[122:123]
	v_add_f64_e32 v[2:3], v[2:3], v[120:121]
	v_fma_f64 v[120:121], v[134:135], s[12:13], v[30:31]
	s_delay_alu instid0(VALU_DEP_4)
	v_add_f64_e32 v[0:1], v[0:1], v[122:123]
	v_fma_f64 v[30:31], v[134:135], s[14:15], v[30:31]
	v_fma_f64 v[122:123], v[138:139], s[14:15], v[34:35]
	;; [unrolled: 1-line block ×3, first 2 shown]
	v_add_f64_e32 v[118:119], v[112:113], v[118:119]
	v_add_f64_e32 v[2:3], v[2:3], v[116:117]
	v_add_f64_e64 v[116:117], v[124:125], -v[116:117]
	v_fma_f64 v[112:113], v[132:133], s[8:9], v[120:121]
	v_fma_f64 v[30:31], v[132:133], s[10:11], v[30:31]
	v_add_f64_e32 v[0:1], v[0:1], v[126:127]
	v_fma_f64 v[34:35], v[136:137], s[8:9], v[34:35]
	v_add_f64_e32 v[2:3], v[2:3], v[124:125]
	v_add_f64_e32 v[124:125], v[114:115], v[116:117]
	v_fma_f64 v[114:115], v[136:137], s[10:11], v[122:123]
	v_fma_f64 v[112:113], v[118:119], s[16:17], v[112:113]
	;; [unrolled: 1-line block ×3, first 2 shown]
	s_delay_alu instid0(VALU_DEP_4) | instskip(NEXT) | instid1(VALU_DEP_4)
	v_fma_f64 v[118:119], v[124:125], s[16:17], v[34:35]
	v_fma_f64 v[114:115], v[124:125], s[16:17], v[114:115]
	ds_load_b128 v[120:123], v174 offset:1008
	ds_load_b128 v[124:127], v174 offset:2016
	ds_load_b128 v[132:135], v174 offset:3024
	global_wb scope:SCOPE_SE
	s_wait_dscnt 0x0
	s_barrier_signal -1
	s_barrier_wait -1
	global_inv scope:SCOPE_SE
	scratch_load_b32 v30, off, off offset:876 th:TH_LOAD_LU ; 4-byte Folded Reload
	v_add_f64_e64 v[34:35], v[104:105], -v[100:101]
	s_wait_loadcnt 0x0
	ds_store_b128 v30, v[0:3]
	ds_store_b128 v30, v[112:115] offset:576
	ds_store_b128 v30, v[20:23] offset:1152
	;; [unrolled: 1-line block ×4, first 2 shown]
	v_add_f64_e64 v[0:1], v[98:99], -v[102:103]
	v_add_f64_e64 v[2:3], v[110:111], -v[106:107]
	;; [unrolled: 1-line block ×3, first 2 shown]
	v_add_f64_e32 v[22:23], v[104:105], v[100:101]
	v_add_f64_e64 v[30:31], v[96:97], -v[108:109]
	v_add_f64_e64 v[128:129], v[98:99], -v[110:111]
	;; [unrolled: 1-line block ×3, first 2 shown]
	v_add_f64_e32 v[0:1], v[0:1], v[2:3]
	v_add_f64_e64 v[2:3], v[96:97], -v[104:105]
	v_fma_f64 v[22:23], v[22:23], -0.5, v[122:123]
	s_delay_alu instid0(VALU_DEP_2) | instskip(SKIP_1) | instid1(VALU_DEP_3)
	v_add_f64_e32 v[2:3], v[2:3], v[20:21]
	v_add_f64_e32 v[20:21], v[102:103], v[106:107]
	v_fma_f64 v[114:115], v[128:129], s[14:15], v[22:23]
	v_fma_f64 v[22:23], v[128:129], s[12:13], v[22:23]
	s_delay_alu instid0(VALU_DEP_3) | instskip(NEXT) | instid1(VALU_DEP_3)
	v_fma_f64 v[20:21], v[20:21], -0.5, v[120:121]
	v_fma_f64 v[114:115], v[130:131], s[10:11], v[114:115]
	s_delay_alu instid0(VALU_DEP_3) | instskip(NEXT) | instid1(VALU_DEP_3)
	v_fma_f64 v[22:23], v[130:131], s[8:9], v[22:23]
	v_fma_f64 v[112:113], v[30:31], s[12:13], v[20:21]
	;; [unrolled: 1-line block ×3, first 2 shown]
	s_delay_alu instid0(VALU_DEP_3)
	v_fma_f64 v[118:119], v[2:3], s[16:17], v[22:23]
	v_add_f64_e32 v[22:23], v[122:123], v[96:97]
	v_fma_f64 v[114:115], v[2:3], s[16:17], v[114:115]
	v_add_f64_e32 v[2:3], v[96:97], v[108:109]
	v_fma_f64 v[112:113], v[34:35], s[8:9], v[112:113]
	v_fma_f64 v[20:21], v[34:35], s[10:11], v[20:21]
	v_add_f64_e32 v[22:23], v[22:23], v[104:105]
	s_delay_alu instid0(VALU_DEP_4)
	v_fma_f64 v[2:3], v[2:3], -0.5, v[122:123]
	v_add_f64_e64 v[122:123], v[88:89], -v[92:93]
	v_fma_f64 v[112:113], v[0:1], s[16:17], v[112:113]
	v_fma_f64 v[116:117], v[0:1], s[16:17], v[20:21]
	v_add_f64_e32 v[20:21], v[120:121], v[98:99]
	v_add_f64_e32 v[0:1], v[98:99], v[110:111]
	;; [unrolled: 1-line block ×3, first 2 shown]
	s_delay_alu instid0(VALU_DEP_3) | instskip(NEXT) | instid1(VALU_DEP_3)
	v_add_f64_e32 v[20:21], v[20:21], v[102:103]
	v_fma_f64 v[0:1], v[0:1], -0.5, v[120:121]
	v_add_f64_e64 v[120:121], v[102:103], -v[98:99]
	v_add_f64_e64 v[102:103], v[104:105], -v[96:97]
	;; [unrolled: 1-line block ×3, first 2 shown]
	v_add_f64_e32 v[98:99], v[22:23], v[108:109]
	v_add_f64_e32 v[20:21], v[20:21], v[106:107]
	v_fma_f64 v[22:23], v[34:35], s[14:15], v[0:1]
	v_fma_f64 v[0:1], v[34:35], s[12:13], v[0:1]
	;; [unrolled: 1-line block ×4, first 2 shown]
	v_add_f64_e32 v[104:105], v[120:121], v[104:105]
	v_add_f64_e64 v[120:121], v[86:87], -v[6:7]
	v_add_f64_e32 v[130:131], v[134:135], v[8:9]
	v_add_f64_e32 v[96:97], v[20:21], v[110:111]
	v_add_f64_e64 v[20:21], v[100:101], -v[108:109]
	v_fma_f64 v[22:23], v[30:31], s[8:9], v[22:23]
	v_fma_f64 v[0:1], v[30:31], s[10:11], v[0:1]
	;; [unrolled: 1-line block ×4, first 2 shown]
	v_add_f64_e64 v[34:35], v[90:91], -v[4:5]
	v_add_f64_e64 v[128:129], v[88:89], -v[86:87]
	v_add_f64_e32 v[20:21], v[102:103], v[20:21]
	v_fma_f64 v[100:101], v[104:105], s[16:17], v[22:23]
	v_fma_f64 v[104:105], v[104:105], s[16:17], v[0:1]
	v_add_f64_e64 v[0:1], v[86:87], -v[88:89]
	v_add_f64_e32 v[22:23], v[90:91], v[4:5]
	v_fma_f64 v[106:107], v[20:21], s[16:17], v[2:3]
	v_add_f64_e64 v[2:3], v[6:7], -v[92:93]
	v_fma_f64 v[102:103], v[20:21], s[16:17], v[30:31]
	v_add_f64_e64 v[20:21], v[94:95], -v[4:5]
	v_add_f64_e64 v[30:31], v[84:85], -v[94:95]
	v_fma_f64 v[22:23], v[22:23], -0.5, v[126:127]
	v_add_f64_e32 v[0:1], v[0:1], v[2:3]
	v_add_f64_e64 v[2:3], v[84:85], -v[90:91]
	s_delay_alu instid0(VALU_DEP_3) | instskip(SKIP_1) | instid1(VALU_DEP_3)
	v_fma_f64 v[110:111], v[120:121], s[14:15], v[22:23]
	v_fma_f64 v[22:23], v[120:121], s[12:13], v[22:23]
	v_add_f64_e32 v[2:3], v[2:3], v[20:21]
	v_add_f64_e32 v[20:21], v[88:89], v[92:93]
	s_delay_alu instid0(VALU_DEP_4) | instskip(NEXT) | instid1(VALU_DEP_4)
	v_fma_f64 v[110:111], v[122:123], s[10:11], v[110:111]
	v_fma_f64 v[22:23], v[122:123], s[8:9], v[22:23]
	s_delay_alu instid0(VALU_DEP_3) | instskip(NEXT) | instid1(VALU_DEP_3)
	v_fma_f64 v[20:21], v[20:21], -0.5, v[124:125]
	v_fma_f64 v[110:111], v[2:3], s[16:17], v[110:111]
	s_delay_alu instid0(VALU_DEP_3) | instskip(SKIP_1) | instid1(VALU_DEP_4)
	v_fma_f64 v[2:3], v[2:3], s[16:17], v[22:23]
	v_add_f64_e32 v[22:23], v[84:85], v[94:95]
	v_fma_f64 v[108:109], v[30:31], s[12:13], v[20:21]
	v_fma_f64 v[20:21], v[30:31], s[14:15], v[20:21]
	s_delay_alu instid0(VALU_DEP_3) | instskip(SKIP_1) | instid1(VALU_DEP_4)
	v_fma_f64 v[22:23], v[22:23], -0.5, v[126:127]
	v_add_f64_e32 v[126:127], v[126:127], v[84:85]
	v_fma_f64 v[108:109], v[34:35], s[8:9], v[108:109]
	s_delay_alu instid0(VALU_DEP_4) | instskip(NEXT) | instid1(VALU_DEP_2)
	v_fma_f64 v[20:21], v[34:35], s[10:11], v[20:21]
	v_fma_f64 v[108:109], v[0:1], s[16:17], v[108:109]
	s_delay_alu instid0(VALU_DEP_2) | instskip(SKIP_1) | instid1(VALU_DEP_1)
	v_fma_f64 v[0:1], v[0:1], s[16:17], v[20:21]
	v_add_f64_e32 v[20:21], v[86:87], v[6:7]
	v_fma_f64 v[20:21], v[20:21], -0.5, v[124:125]
	v_add_f64_e32 v[124:125], v[124:125], v[86:87]
	s_delay_alu instid0(VALU_DEP_1)
	v_add_f64_e32 v[86:87], v[124:125], v[88:89]
	v_add_f64_e32 v[88:89], v[126:127], v[90:91]
	v_add_f64_e64 v[90:91], v[90:91], -v[84:85]
	v_add_f64_e64 v[124:125], v[80:81], -v[26:27]
	v_add_f64_e64 v[126:127], v[10:11], -v[32:33]
	v_add_f64_e32 v[84:85], v[86:87], v[92:93]
	v_add_f64_e32 v[86:87], v[88:89], v[4:5]
	v_add_f64_e64 v[88:89], v[92:93], -v[6:7]
	v_add_f64_e64 v[4:5], v[4:5], -v[94:95]
	s_delay_alu instid0(VALU_DEP_4)
	v_add_f64_e32 v[84:85], v[84:85], v[6:7]
	v_fma_f64 v[6:7], v[34:35], s[14:15], v[20:21]
	v_fma_f64 v[20:21], v[34:35], s[12:13], v[20:21]
	;; [unrolled: 1-line block ×4, first 2 shown]
	v_add_f64_e32 v[92:93], v[128:129], v[88:89]
	v_add_f64_e32 v[4:5], v[90:91], v[4:5]
	;; [unrolled: 1-line block ×3, first 2 shown]
	v_add_f64_e64 v[122:123], v[8:9], -v[28:29]
	v_add_f64_e32 v[128:129], v[132:133], v[10:11]
	v_fma_f64 v[6:7], v[30:31], s[8:9], v[6:7]
	v_fma_f64 v[20:21], v[30:31], s[10:11], v[20:21]
	;; [unrolled: 1-line block ×4, first 2 shown]
	v_add_f64_e64 v[120:121], v[82:83], -v[24:25]
	v_fma_f64 v[88:89], v[92:93], s[16:17], v[6:7]
	v_add_f64_e64 v[6:7], v[26:27], -v[32:33]
	v_fma_f64 v[90:91], v[4:5], s[16:17], v[30:31]
	v_fma_f64 v[94:95], v[4:5], s[16:17], v[22:23]
	v_add_f64_e64 v[4:5], v[80:81], -v[10:11]
	v_fma_f64 v[92:93], v[92:93], s[16:17], v[20:21]
	s_delay_alu instid0(VALU_DEP_2) | instskip(SKIP_2) | instid1(VALU_DEP_1)
	v_add_f64_e32 v[20:21], v[4:5], v[6:7]
	v_add_f64_e64 v[4:5], v[82:83], -v[8:9]
	v_add_f64_e64 v[6:7], v[24:25], -v[28:29]
	v_add_f64_e32 v[22:23], v[4:5], v[6:7]
	v_add_f64_e32 v[4:5], v[10:11], v[32:33]
	s_delay_alu instid0(VALU_DEP_1) | instskip(SKIP_1) | instid1(VALU_DEP_1)
	v_fma_f64 v[30:31], v[4:5], -0.5, v[132:133]
	v_add_f64_e32 v[4:5], v[8:9], v[28:29]
	v_fma_f64 v[34:35], v[4:5], -0.5, v[134:135]
	s_delay_alu instid0(VALU_DEP_3) | instskip(SKIP_1) | instid1(VALU_DEP_3)
	v_fma_f64 v[4:5], v[120:121], s[14:15], v[30:31]
	v_fma_f64 v[30:31], v[120:121], s[12:13], v[30:31]
	;; [unrolled: 1-line block ×3, first 2 shown]
	s_delay_alu instid0(VALU_DEP_3) | instskip(SKIP_1) | instid1(VALU_DEP_4)
	v_fma_f64 v[4:5], v[122:123], s[8:9], v[4:5]
	v_fma_f64 v[34:35], v[124:125], s[14:15], v[34:35]
	v_fma_f64 v[30:31], v[122:123], s[10:11], v[30:31]
	s_delay_alu instid0(VALU_DEP_4) | instskip(NEXT) | instid1(VALU_DEP_4)
	v_fma_f64 v[6:7], v[126:127], s[10:11], v[6:7]
	v_fma_f64 v[4:5], v[20:21], s[16:17], v[4:5]
	s_delay_alu instid0(VALU_DEP_4) | instskip(NEXT) | instid1(VALU_DEP_4)
	v_fma_f64 v[34:35], v[126:127], s[8:9], v[34:35]
	v_fma_f64 v[20:21], v[20:21], s[16:17], v[30:31]
	v_add_f64_e32 v[30:31], v[80:81], v[26:27]
	v_fma_f64 v[6:7], v[22:23], s[16:17], v[6:7]
	s_delay_alu instid0(VALU_DEP_4) | instskip(SKIP_1) | instid1(VALU_DEP_4)
	v_fma_f64 v[22:23], v[22:23], s[16:17], v[34:35]
	v_add_f64_e32 v[34:35], v[82:83], v[24:25]
	v_fma_f64 v[30:31], v[30:31], -0.5, v[132:133]
	v_add_f64_e64 v[132:133], v[10:11], -v[80:81]
	v_add_f64_e32 v[10:11], v[128:129], v[80:81]
	v_add_f64_e32 v[80:81], v[130:131], v[82:83]
	v_add_f64_e64 v[82:83], v[8:9], -v[82:83]
	v_fma_f64 v[34:35], v[34:35], -0.5, v[134:135]
	v_fma_f64 v[128:129], v[122:123], s[12:13], v[30:31]
	v_fma_f64 v[30:31], v[122:123], s[14:15], v[30:31]
	v_add_f64_e32 v[8:9], v[10:11], v[26:27]
	v_add_f64_e32 v[10:11], v[80:81], v[24:25]
	v_add_f64_e64 v[26:27], v[32:33], -v[26:27]
	v_add_f64_e64 v[24:25], v[28:29], -v[24:25]
	v_fma_f64 v[30:31], v[120:121], s[10:11], v[30:31]
	v_add_f64_e32 v[8:9], v[8:9], v[32:33]
	v_add_f64_e32 v[10:11], v[10:11], v[28:29]
	v_fma_f64 v[28:29], v[126:127], s[14:15], v[34:35]
	v_fma_f64 v[32:33], v[126:127], s[12:13], v[34:35]
	v_add_f64_e32 v[34:35], v[132:133], v[26:27]
	v_fma_f64 v[26:27], v[120:121], s[8:9], v[128:129]
	v_add_f64_e32 v[80:81], v[82:83], v[24:25]
	v_fma_f64 v[28:29], v[124:125], s[10:11], v[28:29]
	v_fma_f64 v[32:33], v[124:125], s[8:9], v[32:33]
	s_delay_alu instid0(VALU_DEP_4) | instskip(NEXT) | instid1(VALU_DEP_3)
	v_fma_f64 v[24:25], v[34:35], s[16:17], v[26:27]
	v_fma_f64 v[26:27], v[80:81], s[16:17], v[28:29]
	;; [unrolled: 1-line block ×3, first 2 shown]
	s_delay_alu instid0(VALU_DEP_4)
	v_fma_f64 v[30:31], v[80:81], s[16:17], v[32:33]
	scratch_load_b32 v32, off, off offset:872 th:TH_LOAD_LU ; 4-byte Folded Reload
	s_wait_loadcnt 0x0
	ds_store_b128 v32, v[96:99]
	ds_store_b128 v32, v[112:115] offset:576
	ds_store_b128 v32, v[100:103] offset:1152
	ds_store_b128 v32, v[104:107] offset:1728
	ds_store_b128 v32, v[116:119] offset:2304
	scratch_load_b32 v32, off, off offset:868 th:TH_LOAD_LU ; 4-byte Folded Reload
	s_wait_loadcnt 0x0
	ds_store_b128 v32, v[84:87]
	ds_store_b128 v32, v[108:111] offset:576
	ds_store_b128 v32, v[88:91] offset:1152
	ds_store_b128 v32, v[92:95] offset:1728
	ds_store_b128 v32, v[0:3] offset:2304
	;; [unrolled: 7-line block ×3, first 2 shown]
	global_wb scope:SCOPE_SE
	s_wait_dscnt 0x0
	s_barrier_signal -1
	s_barrier_wait -1
	global_inv scope:SCOPE_SE
	ds_load_b128 v[80:83], v174
	ds_load_b128 v[32:35], v174 offset:1008
	ds_load_b128 v[124:127], v174 offset:2880
	;; [unrolled: 1-line block ×13, first 2 shown]
	s_and_saveexec_b32 s1, s0
	s_cbranch_execz .LBB0_23
; %bb.22:
	ds_load_b128 v[0:3], v174 offset:2016
	ds_load_b128 v[8:11], v174 offset:4896
	;; [unrolled: 1-line block ×7, first 2 shown]
.LBB0_23:
	s_wait_alu 0xfffe
	s_or_b32 exec_lo, exec_lo, s1
	s_wait_dscnt 0xb
	v_mul_f64_e32 v[132:133], v[50:51], v[126:127]
	v_mul_f64_e32 v[50:51], v[50:51], v[124:125]
	s_mov_b32 s18, 0xe976ee23
	s_mov_b32 s8, 0x429ad128
	;; [unrolled: 1-line block ×7, first 2 shown]
	s_wait_alu 0xfffe
	s_mov_b32 s12, s10
	s_mov_b32 s20, 0x36b3c0b5
	;; [unrolled: 1-line block ×6, first 2 shown]
	s_wait_alu 0xfffe
	s_mov_b32 s16, s14
	s_mov_b32 s24, 0x37c3f68c
	;; [unrolled: 1-line block ×5, first 2 shown]
	s_delay_alu instid0(VALU_DEP_2) | instskip(NEXT) | instid1(VALU_DEP_2)
	v_fma_f64 v[132:133], v[48:49], v[124:125], v[132:133]
	v_fma_f64 v[48:49], v[48:49], v[126:127], -v[50:51]
	s_wait_dscnt 0x9
	v_mul_f64_e32 v[50:51], v[38:39], v[122:123]
	v_mul_f64_e32 v[38:39], v[38:39], v[120:121]
	s_delay_alu instid0(VALU_DEP_2) | instskip(NEXT) | instid1(VALU_DEP_2)
	v_fma_f64 v[50:51], v[36:37], v[120:121], v[50:51]
	v_fma_f64 v[36:37], v[36:37], v[122:123], -v[38:39]
	s_wait_dscnt 0x1
	v_mul_f64_e32 v[38:39], v[62:63], v[130:131]
	v_mul_f64_e32 v[62:63], v[62:63], v[128:129]
	s_delay_alu instid0(VALU_DEP_2) | instskip(NEXT) | instid1(VALU_DEP_2)
	v_fma_f64 v[38:39], v[60:61], v[128:129], v[38:39]
	v_fma_f64 v[60:61], v[60:61], v[130:131], -v[62:63]
	v_mul_f64_e32 v[62:63], v[54:55], v[118:119]
	v_mul_f64_e32 v[54:55], v[54:55], v[116:117]
	s_delay_alu instid0(VALU_DEP_2) | instskip(NEXT) | instid1(VALU_DEP_2)
	v_fma_f64 v[62:63], v[52:53], v[116:117], v[62:63]
	v_fma_f64 v[52:53], v[52:53], v[118:119], -v[54:55]
	;; [unrolled: 5-line block ×4, first 2 shown]
	s_wait_dscnt 0x0
	v_mul_f64_e32 v[58:59], v[74:75], v[114:115]
	v_mul_f64_e32 v[74:75], v[74:75], v[112:113]
	s_delay_alu instid0(VALU_DEP_2) | instskip(NEXT) | instid1(VALU_DEP_2)
	v_fma_f64 v[58:59], v[72:73], v[112:113], v[58:59]
	v_fma_f64 v[72:73], v[72:73], v[114:115], -v[74:75]
	v_mul_f64_e32 v[74:75], v[70:71], v[102:103]
	v_mul_f64_e32 v[70:71], v[70:71], v[100:101]
	s_delay_alu instid0(VALU_DEP_3) | instskip(NEXT) | instid1(VALU_DEP_3)
	v_add_f64_e32 v[110:111], v[64:65], v[72:73]
	v_fma_f64 v[74:75], v[68:69], v[100:101], v[74:75]
	s_delay_alu instid0(VALU_DEP_3)
	v_fma_f64 v[68:69], v[68:69], v[102:103], -v[70:71]
	v_mul_f64_e32 v[70:71], v[18:19], v[98:99]
	v_mul_f64_e32 v[18:19], v[18:19], v[96:97]
	v_add_f64_e32 v[100:101], v[36:37], v[52:53]
	v_add_f64_e64 v[36:37], v[36:37], -v[52:53]
	v_add_f64_e64 v[52:53], v[66:67], -v[74:75]
	v_add_f64_e32 v[112:113], v[56:57], v[68:69]
	v_fma_f64 v[70:71], v[16:17], v[96:97], v[70:71]
	v_fma_f64 v[96:97], v[16:17], v[98:99], -v[18:19]
	v_mul_f64_e32 v[16:17], v[14:15], v[94:95]
	v_mul_f64_e32 v[14:15], v[14:15], v[92:93]
	v_add_f64_e64 v[56:57], v[56:57], -v[68:69]
	s_delay_alu instid0(VALU_DEP_3) | instskip(NEXT) | instid1(VALU_DEP_3)
	v_fma_f64 v[98:99], v[12:13], v[92:93], v[16:17]
	v_fma_f64 v[92:93], v[12:13], v[94:95], -v[14:15]
	v_mul_f64_e32 v[12:13], v[46:47], v[90:91]
	s_delay_alu instid0(VALU_DEP_2) | instskip(NEXT) | instid1(VALU_DEP_2)
	v_add_f64_e32 v[102:103], v[96:97], v[92:93]
	v_fma_f64 v[94:95], v[44:45], v[88:89], v[12:13]
	v_mul_f64_e32 v[12:13], v[46:47], v[88:89]
	s_delay_alu instid0(VALU_DEP_1) | instskip(SKIP_3) | instid1(VALU_DEP_3)
	v_fma_f64 v[44:45], v[44:45], v[90:91], -v[12:13]
	v_mul_f64_e32 v[12:13], v[42:43], v[86:87]
	v_add_f64_e32 v[90:91], v[48:49], v[60:61]
	v_add_f64_e64 v[48:49], v[48:49], -v[60:61]
	v_fma_f64 v[46:47], v[40:41], v[84:85], v[12:13]
	v_mul_f64_e32 v[12:13], v[42:43], v[84:85]
	v_add_f64_e32 v[42:43], v[132:133], v[38:39]
	v_add_f64_e32 v[84:85], v[50:51], v[62:63]
	v_add_f64_e64 v[38:39], v[132:133], -v[38:39]
	v_add_f64_e32 v[106:107], v[94:95], v[46:47]
	v_fma_f64 v[40:41], v[40:41], v[86:87], -v[12:13]
	v_add_f64_e32 v[86:87], v[70:71], v[98:99]
	v_add_f64_e32 v[12:13], v[84:85], v[42:43]
	v_add_f64_e64 v[46:47], v[46:47], -v[94:95]
	s_delay_alu instid0(VALU_DEP_4) | instskip(SKIP_1) | instid1(VALU_DEP_4)
	v_add_f64_e32 v[114:115], v[44:45], v[40:41]
	v_add_f64_e64 v[40:41], v[40:41], -v[44:45]
	v_add_f64_e32 v[88:89], v[86:87], v[12:13]
	v_add_f64_e32 v[12:13], v[100:101], v[90:91]
	v_add_f64_e64 v[44:45], v[54:55], -v[58:59]
	v_add_f64_e64 v[60:61], v[86:87], -v[84:85]
	;; [unrolled: 1-line block ×3, first 2 shown]
	s_delay_alu instid0(VALU_DEP_4)
	v_add_f64_e32 v[104:105], v[102:103], v[12:13]
	v_add_f64_e32 v[12:13], v[80:81], v[88:89]
	;; [unrolled: 1-line block ×3, first 2 shown]
	v_add_f64_e64 v[58:59], v[42:43], -v[86:87]
	v_add_f64_e64 v[42:43], v[84:85], -v[42:43]
	;; [unrolled: 1-line block ×4, first 2 shown]
	v_add_f64_e32 v[14:15], v[82:83], v[104:105]
	v_add_f64_e32 v[82:83], v[66:67], v[74:75]
	v_add_f64_e64 v[66:67], v[100:101], -v[90:91]
	v_mul_f64_e32 v[58:59], s[22:23], v[58:59]
	v_add_f64_e64 v[68:69], v[80:81], -v[106:107]
	v_add_f64_e64 v[74:75], v[110:111], -v[114:115]
	v_add_f64_e32 v[16:17], v[82:83], v[80:81]
	v_add_f64_e64 v[72:73], v[82:83], -v[80:81]
	v_add_f64_e64 v[80:81], v[114:115], -v[112:113]
	v_mul_f64_e32 v[68:69], s[22:23], v[68:69]
	v_mul_f64_e32 v[74:75], s[22:23], v[74:75]
	v_add_f64_e32 v[108:109], v[106:107], v[16:17]
	v_add_f64_e32 v[16:17], v[112:113], v[110:111]
	s_delay_alu instid0(VALU_DEP_1) | instskip(NEXT) | instid1(VALU_DEP_3)
	v_add_f64_e32 v[116:117], v[114:115], v[16:17]
	v_add_f64_e32 v[16:17], v[32:33], v[108:109]
	v_add_f64_e64 v[32:33], v[50:51], -v[62:63]
	v_add_f64_e64 v[50:51], v[92:93], -v[96:97]
	;; [unrolled: 1-line block ×4, first 2 shown]
	v_add_f64_e32 v[18:19], v[34:35], v[116:117]
	v_add_f64_e64 v[34:35], v[98:99], -v[70:71]
	v_add_f64_e64 v[70:71], v[106:107], -v[82:83]
	;; [unrolled: 1-line block ×4, first 2 shown]
	s_delay_alu instid0(VALU_DEP_4) | instskip(SKIP_3) | instid1(VALU_DEP_4)
	v_add_f64_e32 v[84:85], v[34:35], v[32:33]
	v_add_f64_e64 v[86:87], v[34:35], -v[32:33]
	v_add_f64_e64 v[32:33], v[32:33], -v[38:39]
	;; [unrolled: 1-line block ×3, first 2 shown]
	v_add_f64_e32 v[38:39], v[84:85], v[38:39]
	v_add_f64_e32 v[84:85], v[50:51], v[36:37]
	v_add_f64_e64 v[36:37], v[36:37], -v[48:49]
	v_add_f64_e64 v[50:51], v[48:49], -v[50:51]
	s_delay_alu instid0(VALU_DEP_3) | instskip(SKIP_3) | instid1(VALU_DEP_3)
	v_add_f64_e32 v[48:49], v[84:85], v[48:49]
	v_add_f64_e32 v[84:85], v[46:47], v[52:53]
	v_add_f64_e64 v[52:53], v[52:53], -v[44:45]
	v_add_f64_e64 v[46:47], v[44:45], -v[46:47]
	v_add_f64_e32 v[44:45], v[84:85], v[44:45]
	v_add_f64_e32 v[84:85], v[40:41], v[56:57]
	v_add_f64_e64 v[56:57], v[56:57], -v[54:55]
	v_add_f64_e64 v[40:41], v[54:55], -v[40:41]
	s_delay_alu instid0(VALU_DEP_3) | instskip(SKIP_2) | instid1(VALU_DEP_2)
	v_add_f64_e32 v[54:55], v[84:85], v[54:55]
	v_mul_f64_e32 v[84:85], s[18:19], v[86:87]
	v_mul_f64_e32 v[86:87], s[8:9], v[32:33]
	v_fma_f64 v[32:33], v[32:33], s[8:9], -v[84:85]
	v_fma_f64 v[84:85], v[34:35], s[10:11], v[84:85]
	s_delay_alu instid0(VALU_DEP_3) | instskip(SKIP_3) | instid1(VALU_DEP_4)
	v_fma_f64 v[34:35], v[34:35], s[12:13], -v[86:87]
	v_mul_f64_e32 v[86:87], s[18:19], v[90:91]
	v_mul_f64_e32 v[90:91], s[8:9], v[36:37]
	s_wait_alu 0xfffe
	v_fma_f64 v[84:85], v[38:39], s[24:25], v[84:85]
	s_delay_alu instid0(VALU_DEP_4) | instskip(NEXT) | instid1(VALU_DEP_4)
	v_fma_f64 v[96:97], v[38:39], s[24:25], v[34:35]
	v_fma_f64 v[36:37], v[36:37], s[8:9], -v[86:87]
	v_fma_f64 v[86:87], v[50:51], s[10:11], v[86:87]
	v_fma_f64 v[50:51], v[50:51], s[12:13], -v[90:91]
	v_mul_f64_e32 v[90:91], s[20:21], v[60:61]
	v_fma_f64 v[60:61], v[60:61], s[20:21], v[58:59]
	v_fma_f64 v[34:35], v[116:117], s[26:27], v[18:19]
	;; [unrolled: 1-line block ×5, first 2 shown]
	v_fma_f64 v[90:91], v[42:43], s[14:15], -v[90:91]
	v_fma_f64 v[42:43], v[42:43], s[16:17], -v[58:59]
	v_mul_f64_e32 v[58:59], s[22:23], v[62:63]
	v_mul_f64_e32 v[62:63], s[20:21], v[64:65]
	s_delay_alu instid0(VALU_DEP_2) | instskip(NEXT) | instid1(VALU_DEP_2)
	v_fma_f64 v[64:65], v[64:65], s[20:21], v[58:59]
	v_fma_f64 v[62:63], v[66:67], s[14:15], -v[62:63]
	v_fma_f64 v[58:59], v[66:67], s[16:17], -v[58:59]
	v_mul_f64_e32 v[66:67], s[18:19], v[92:93]
	v_mul_f64_e32 v[92:93], s[8:9], v[52:53]
	s_delay_alu instid0(VALU_DEP_2) | instskip(SKIP_1) | instid1(VALU_DEP_3)
	v_fma_f64 v[52:53], v[52:53], s[8:9], -v[66:67]
	v_fma_f64 v[66:67], v[46:47], s[10:11], v[66:67]
	v_fma_f64 v[46:47], v[46:47], s[12:13], -v[92:93]
	v_mul_f64_e32 v[92:93], s[18:19], v[94:95]
	v_mul_f64_e32 v[94:95], s[8:9], v[56:57]
	s_delay_alu instid0(VALU_DEP_4) | instskip(SKIP_1) | instid1(VALU_DEP_4)
	v_fma_f64 v[98:99], v[44:45], s[24:25], v[66:67]
	v_fma_f64 v[66:67], v[44:45], s[24:25], v[52:53]
	v_fma_f64 v[56:57], v[56:57], s[8:9], -v[92:93]
	v_fma_f64 v[92:93], v[40:41], s[10:11], v[92:93]
	v_fma_f64 v[40:41], v[40:41], s[12:13], -v[94:95]
	v_mul_f64_e32 v[94:95], s[20:21], v[70:71]
	v_fma_f64 v[70:71], v[70:71], s[20:21], v[68:69]
	v_fma_f64 v[68:69], v[72:73], s[16:17], -v[68:69]
	v_fma_f64 v[100:101], v[44:45], s[24:25], v[46:47]
	v_fma_f64 v[102:103], v[54:55], s[24:25], v[56:57]
	;; [unrolled: 1-line block ×4, first 2 shown]
	v_fma_f64 v[72:73], v[72:73], s[14:15], -v[94:95]
	v_mul_f64_e32 v[94:95], s[20:21], v[80:81]
	v_fma_f64 v[80:81], v[80:81], s[20:21], v[74:75]
	v_fma_f64 v[74:75], v[82:83], s[16:17], -v[74:75]
	s_delay_alu instid0(VALU_DEP_3) | instskip(SKIP_3) | instid1(VALU_DEP_2)
	v_fma_f64 v[82:83], v[82:83], s[14:15], -v[94:95]
	v_fma_f64 v[94:95], v[38:39], s[24:25], v[32:33]
	v_fma_f64 v[32:33], v[88:89], s[26:27], v[12:13]
	v_add_f64_e32 v[88:89], v[80:81], v[34:35]
	v_add_f64_e32 v[52:53], v[60:61], v[32:33]
	;; [unrolled: 1-line block ×4, first 2 shown]
	v_fma_f64 v[32:33], v[104:105], s[26:27], v[14:15]
	s_delay_alu instid0(VALU_DEP_1)
	v_add_f64_e32 v[54:55], v[64:65], v[32:33]
	v_add_f64_e32 v[46:47], v[58:59], v[32:33]
	;; [unrolled: 1-line block ×3, first 2 shown]
	v_fma_f64 v[32:33], v[108:109], s[26:27], v[16:17]
	v_add_f64_e32 v[62:63], v[82:83], v[34:35]
	v_add_f64_e64 v[50:51], v[54:55], -v[84:85]
	v_add_f64_e64 v[42:43], v[46:47], -v[96:97]
	v_add_f64_e32 v[46:47], v[96:97], v[46:47]
	v_add_f64_e32 v[60:61], v[72:73], v[32:33]
	;; [unrolled: 1-line block ×5, first 2 shown]
	v_add_f64_e64 v[32:33], v[38:39], -v[36:37]
	v_add_f64_e32 v[34:35], v[94:95], v[40:41]
	v_add_f64_e32 v[36:37], v[36:37], v[38:39]
	v_add_f64_e64 v[38:39], v[40:41], -v[94:95]
	v_add_f64_e32 v[40:41], v[48:49], v[44:45]
	v_add_f64_e64 v[44:45], v[44:45], -v[48:49]
	v_add_f64_e32 v[48:49], v[86:87], v[52:53]
	v_add_f64_e32 v[58:59], v[66:67], v[62:63]
	v_add_f64_e64 v[62:63], v[62:63], -v[66:67]
	v_add_f64_e64 v[74:75], v[88:89], -v[98:99]
	;; [unrolled: 1-line block ×3, first 2 shown]
	v_add_f64_e32 v[54:55], v[84:85], v[54:55]
	v_add_f64_e64 v[56:57], v[60:61], -v[102:103]
	v_add_f64_e64 v[66:67], v[72:73], -v[100:101]
	v_add_f64_e32 v[70:71], v[100:101], v[72:73]
	v_add_f64_e32 v[72:73], v[92:93], v[82:83]
	;; [unrolled: 1-line block ×4, first 2 shown]
	v_add_f64_e64 v[68:69], v[68:69], -v[106:107]
	v_add_f64_e64 v[80:81], v[82:83], -v[92:93]
	v_add_f64_e32 v[82:83], v[98:99], v[88:89]
	ds_store_b128 v174, v[12:15]
	ds_store_b128 v174, v[16:19] offset:1008
	ds_store_b128 v174, v[48:51] offset:2880
	;; [unrolled: 1-line block ×13, first 2 shown]
	s_and_saveexec_b32 s1, s0
	s_cbranch_execz .LBB0_25
; %bb.24:
	s_clause 0x5
	scratch_load_b128 v[64:67], off, off offset:948 th:TH_LOAD_LU
	scratch_load_b128 v[68:71], off, off offset:964 th:TH_LOAD_LU
	;; [unrolled: 1-line block ×6, first 2 shown]
	s_wait_loadcnt 0x5
	v_mul_f64_e32 v[12:13], v[66:67], v[76:77]
	s_wait_loadcnt 0x4
	v_mul_f64_e32 v[16:17], v[70:71], v[28:29]
	;; [unrolled: 2-line block ×4, first 2 shown]
	v_mul_f64_e32 v[32:33], v[62:63], v[10:11]
	v_mul_f64_e32 v[34:35], v[66:67], v[78:79]
	;; [unrolled: 1-line block ×4, first 2 shown]
	s_wait_loadcnt 0x1
	v_mul_f64_e32 v[40:41], v[50:51], v[22:23]
	s_wait_loadcnt 0x0
	v_mul_f64_e32 v[42:43], v[54:55], v[6:7]
	v_mul_f64_e32 v[44:45], v[54:55], v[4:5]
	;; [unrolled: 1-line block ×3, first 2 shown]
	v_fma_f64 v[12:13], v[64:65], v[78:79], -v[12:13]
	v_fma_f64 v[10:11], v[60:61], v[10:11], -v[14:15]
	;; [unrolled: 1-line block ×4, first 2 shown]
	v_fma_f64 v[8:9], v[60:61], v[8:9], v[32:33]
	v_fma_f64 v[18:19], v[64:65], v[76:77], v[34:35]
	;; [unrolled: 1-line block ×6, first 2 shown]
	v_fma_f64 v[6:7], v[52:53], v[6:7], -v[44:45]
	v_fma_f64 v[22:23], v[48:49], v[22:23], -v[46:47]
	v_add_f64_e32 v[28:29], v[10:11], v[12:13]
	v_add_f64_e64 v[10:11], v[10:11], -v[12:13]
	v_add_f64_e32 v[30:31], v[16:17], v[14:15]
	v_add_f64_e64 v[14:15], v[16:17], -v[14:15]
	;; [unrolled: 2-line block ×4, first 2 shown]
	v_add_f64_e64 v[36:37], v[20:21], -v[4:5]
	v_add_f64_e32 v[4:5], v[4:5], v[20:21]
	v_add_f64_e32 v[26:27], v[6:7], v[22:23]
	v_add_f64_e64 v[6:7], v[22:23], -v[6:7]
	v_add_f64_e32 v[18:19], v[30:31], v[28:29]
	v_add_f64_e64 v[42:43], v[14:15], -v[10:11]
	;; [unrolled: 2-line block ×3, first 2 shown]
	v_add_f64_e64 v[16:17], v[36:37], -v[24:25]
	v_add_f64_e64 v[22:23], v[32:33], -v[4:5]
	;; [unrolled: 1-line block ×5, first 2 shown]
	v_add_f64_e32 v[24:25], v[36:37], v[24:25]
	v_add_f64_e32 v[14:15], v[6:7], v[14:15]
	v_add_f64_e64 v[6:7], v[10:11], -v[6:7]
	v_add_f64_e64 v[28:29], v[30:31], -v[28:29]
	;; [unrolled: 1-line block ×3, first 2 shown]
	v_add_f64_e32 v[18:19], v[26:27], v[18:19]
	v_add_f64_e64 v[26:27], v[26:27], -v[30:31]
	v_mul_f64_e32 v[46:47], s[8:9], v[42:43]
	v_add_f64_e32 v[12:13], v[4:5], v[12:13]
	v_add_f64_e64 v[4:5], v[4:5], -v[34:35]
	v_mul_f64_e32 v[16:17], s[18:19], v[16:17]
	v_mul_f64_e32 v[22:23], s[22:23], v[22:23]
	;; [unrolled: 1-line block ×5, first 2 shown]
	v_add_f64_e32 v[8:9], v[24:25], v[8:9]
	v_add_f64_e32 v[10:11], v[14:15], v[10:11]
	;; [unrolled: 1-line block ×3, first 2 shown]
	v_mul_f64_e32 v[30:31], s[20:21], v[26:27]
	v_add_f64_e32 v[0:1], v[0:1], v[12:13]
	v_mul_f64_e32 v[34:35], s[20:21], v[4:5]
	v_fma_f64 v[14:15], v[44:45], s[10:11], v[16:17]
	v_fma_f64 v[4:5], v[4:5], s[20:21], v[22:23]
	v_fma_f64 v[24:25], v[26:27], s[20:21], v[20:21]
	v_fma_f64 v[26:27], v[44:45], s[12:13], -v[36:37]
	v_fma_f64 v[16:17], v[38:39], s[8:9], -v[16:17]
	;; [unrolled: 1-line block ×5, first 2 shown]
	v_fma_f64 v[18:19], v[18:19], s[26:27], v[2:3]
	v_fma_f64 v[28:29], v[28:29], s[14:15], -v[30:31]
	v_fma_f64 v[30:31], v[6:7], s[10:11], v[40:41]
	v_fma_f64 v[6:7], v[6:7], s[12:13], -v[46:47]
	;; [unrolled: 2-line block ×3, first 2 shown]
	v_fma_f64 v[34:35], v[8:9], s[24:25], v[14:15]
	v_fma_f64 v[26:27], v[8:9], s[24:25], v[26:27]
	;; [unrolled: 1-line block ×4, first 2 shown]
	v_add_f64_e32 v[16:17], v[24:25], v[18:19]
	v_add_f64_e32 v[20:21], v[20:21], v[18:19]
	v_add_f64_e32 v[18:19], v[28:29], v[18:19]
	v_fma_f64 v[28:29], v[10:11], s[24:25], v[30:31]
	v_add_f64_e32 v[4:5], v[4:5], v[12:13]
	v_fma_f64 v[30:31], v[10:11], s[24:25], v[6:7]
	v_add_f64_e32 v[38:39], v[22:23], v[12:13]
	v_add_f64_e32 v[12:13], v[32:33], v[12:13]
	;; [unrolled: 1-line block ×4, first 2 shown]
	v_add_f64_e64 v[22:23], v[20:21], -v[26:27]
	v_add_f64_e64 v[26:27], v[16:17], -v[34:35]
	v_add_f64_e32 v[24:25], v[28:29], v[4:5]
	v_add_f64_e64 v[14:15], v[18:19], -v[8:9]
	v_add_f64_e32 v[20:21], v[30:31], v[38:39]
	v_add_f64_e32 v[18:19], v[8:9], v[18:19]
	v_add_f64_e64 v[16:17], v[12:13], -v[36:37]
	v_add_f64_e32 v[12:13], v[36:37], v[12:13]
	v_add_f64_e64 v[8:9], v[38:39], -v[30:31]
	v_add_f64_e64 v[4:5], v[4:5], -v[28:29]
	ds_store_b128 v174, v[0:3] offset:2016
	ds_store_b128 v174, v[24:27] offset:4896
	;; [unrolled: 1-line block ×7, first 2 shown]
.LBB0_25:
	s_wait_alu 0xfffe
	s_or_b32 exec_lo, exec_lo, s1
	global_wb scope:SCOPE_SE
	s_wait_dscnt 0x0
	s_barrier_signal -1
	s_barrier_wait -1
	global_inv scope:SCOPE_SE
	ds_load_b128 v[0:3], v174
	ds_load_b128 v[4:7], v174 offset:10080
	ds_load_b128 v[8:11], v174 offset:1008
	;; [unrolled: 1-line block ×5, first 2 shown]
	s_clause 0x1
	scratch_load_b128 v[90:93], off, off th:TH_LOAD_LU
	scratch_load_b128 v[96:99], off, off offset:64 th:TH_LOAD_LU
	ds_load_b128 v[24:27], v174 offset:12096
	v_mad_co_u64_u32 v[78:79], null, s4, v175, 0
	v_mad_co_u64_u32 v[76:77], null, s6, v202, 0
	s_mov_b32 s8, 0x1a01a01a
	s_mov_b32 s9, 0x3f4a01a0
	s_mul_u64 s[0:1], s[4:5], 0x2760
	s_movk_i32 s10, 0xdc90
	s_mov_b32 s11, -1
	s_wait_loadcnt_dscnt 0x106
	v_mul_f64_e32 v[56:57], v[92:93], v[2:3]
	v_mul_f64_e32 v[58:59], v[92:93], v[0:1]
	s_wait_loadcnt_dscnt 0x5
	v_mul_f64_e32 v[60:61], v[98:99], v[6:7]
	v_mul_f64_e32 v[62:63], v[98:99], v[4:5]
	s_clause 0x1
	scratch_load_b128 v[92:95], off, off offset:48 th:TH_LOAD_LU
	scratch_load_b128 v[98:101], off, off offset:128 th:TH_LOAD_LU
	v_fma_f64 v[88:89], v[90:91], v[0:1], v[56:57]
	v_fma_f64 v[90:91], v[90:91], v[2:3], -v[58:59]
	v_fma_f64 v[60:61], v[96:97], v[4:5], v[60:61]
	v_fma_f64 v[62:63], v[96:97], v[6:7], -v[62:63]
	s_wait_loadcnt_dscnt 0x104
	v_mul_f64_e32 v[64:65], v[94:95], v[10:11]
	s_wait_loadcnt_dscnt 0x3
	v_mul_f64_e32 v[68:69], v[100:101], v[14:15]
	v_mul_f64_e32 v[70:71], v[100:101], v[12:13]
	scratch_load_b128 v[100:103], off, off offset:176 th:TH_LOAD_LU ; 16-byte Folded Reload
	ds_load_b128 v[28:31], v174 offset:13104
	ds_load_b128 v[32:35], v174 offset:4032
	;; [unrolled: 1-line block ×7, first 2 shown]
	s_clause 0x1
	scratch_load_b128 v[110:113], off, off offset:32 th:TH_LOAD_LU
	scratch_load_b128 v[106:109], off, off offset:16 th:TH_LOAD_LU
	v_mul_f64_e32 v[66:67], v[94:95], v[8:9]
	v_fma_f64 v[64:65], v[92:93], v[8:9], v[64:65]
	v_mad_co_u64_u32 v[8:9], null, s7, v202, v[77:78]
	v_fma_f64 v[68:69], v[98:99], v[12:13], v[68:69]
	v_fma_f64 v[70:71], v[98:99], v[14:15], -v[70:71]
	v_fma_f64 v[66:67], v[92:93], v[10:11], -v[66:67]
	s_delay_alu instid0(VALU_DEP_4) | instskip(NEXT) | instid1(VALU_DEP_1)
	v_mov_b32_e32 v77, v8
	v_lshlrev_b64_e32 v[76:77], 4, v[76:77]
	s_wait_loadcnt_dscnt 0x209
	v_mul_f64_e32 v[72:73], v[102:103], v[18:19]
	v_mul_f64_e32 v[74:75], v[102:103], v[16:17]
	s_wait_loadcnt_dscnt 0x107
	v_mul_f64_e32 v[80:81], v[112:113], v[26:27]
	v_mul_f64_e32 v[82:83], v[112:113], v[24:25]
	scratch_load_b128 v[112:115], off, off offset:80 th:TH_LOAD_LU ; 16-byte Folded Reload
	s_wait_loadcnt 0x1
	v_mul_f64_e32 v[84:85], v[108:109], v[22:23]
	v_mul_f64_e32 v[86:87], v[108:109], v[20:21]
	v_fma_f64 v[72:73], v[100:101], v[16:17], v[72:73]
	v_fma_f64 v[74:75], v[100:101], v[18:19], -v[74:75]
	v_mad_co_u64_u32 v[92:93], null, s5, v175, v[79:80]
	s_wait_alu 0xfffe
	s_mul_u64 s[4:5], s[4:5], s[10:11]
	s_delay_alu instid0(VALU_DEP_1) | instskip(SKIP_3) | instid1(VALU_DEP_3)
	v_mov_b32_e32 v79, v92
	v_add_co_u32 v92, vcc_lo, s2, v76
	s_wait_alu 0xfffd
	v_add_co_ci_u32_e32 v105, vcc_lo, s3, v77, vcc_lo
	v_lshlrev_b64_e32 v[78:79], 4, v[78:79]
	v_fma_f64 v[76:77], v[110:111], v[24:25], v[80:81]
	v_mul_f64_e32 v[24:25], s[8:9], v[60:61]
	v_mul_f64_e32 v[60:61], s[8:9], v[64:65]
	v_mul_f64_e32 v[64:65], s[8:9], v[68:69]
	v_fma_f64 v[80:81], v[110:111], v[26:27], -v[82:83]
	v_fma_f64 v[82:83], v[106:107], v[20:21], v[84:85]
	v_fma_f64 v[84:85], v[106:107], v[22:23], -v[86:87]
	v_mul_f64_e32 v[20:21], s[8:9], v[88:89]
	v_mul_f64_e32 v[26:27], s[8:9], v[62:63]
	;; [unrolled: 1-line block ×6, first 2 shown]
	v_add_co_u32 v72, vcc_lo, v92, v78
	v_mul_f64_e32 v[70:71], s[8:9], v[74:75]
	s_wait_alu 0xfffd
	v_add_co_ci_u32_e32 v73, vcc_lo, v105, v79, vcc_lo
	s_delay_alu instid0(VALU_DEP_3) | instskip(SKIP_1) | instid1(VALU_DEP_2)
	v_add_co_u32 v90, vcc_lo, v72, s0
	s_wait_alu 0xfffd
	v_add_co_ci_u32_e32 v91, vcc_lo, s1, v73, vcc_lo
	s_wait_loadcnt_dscnt 0x6
	v_mul_f64_e32 v[93:94], v[114:115], v[30:31]
	v_mul_f64_e32 v[95:96], v[114:115], v[28:29]
	scratch_load_b128 v[114:117], off, off offset:112 th:TH_LOAD_LU ; 16-byte Folded Reload
	ds_load_b128 v[0:3], v174 offset:16128
	ds_load_b128 v[4:7], v174 offset:17136
	;; [unrolled: 1-line block ×6, first 2 shown]
	v_fma_f64 v[74:75], v[112:113], v[28:29], v[93:94]
	v_fma_f64 v[78:79], v[112:113], v[30:31], -v[95:96]
	s_wait_alu 0xfffe
	v_add_co_u32 v94, vcc_lo, v90, s4
	s_wait_alu 0xfffd
	v_add_co_ci_u32_e32 v95, vcc_lo, s5, v91, vcc_lo
	v_mul_f64_e32 v[28:29], s[8:9], v[76:77]
	v_mul_f64_e32 v[30:31], s[8:9], v[80:81]
	s_wait_loadcnt_dscnt 0xb
	v_mul_f64_e32 v[97:98], v[116:117], v[34:35]
	v_mul_f64_e32 v[99:100], v[116:117], v[32:33]
	scratch_load_b128 v[117:120], off, off offset:144 th:TH_LOAD_LU ; 16-byte Folded Reload
	v_fma_f64 v[86:87], v[114:115], v[32:33], v[97:98]
	v_fma_f64 v[88:89], v[114:115], v[34:35], -v[99:100]
	scratch_load_b128 v[113:116], off, off offset:96 th:TH_LOAD_LU ; 16-byte Folded Reload
	v_add_co_u32 v98, vcc_lo, v94, s0
	s_wait_alu 0xfffd
	v_add_co_ci_u32_e32 v99, vcc_lo, s1, v95, vcc_lo
	v_mul_f64_e32 v[32:33], s[8:9], v[82:83]
	s_delay_alu instid0(VALU_DEP_3) | instskip(SKIP_1) | instid1(VALU_DEP_3)
	v_add_co_u32 v107, vcc_lo, v98, s4
	s_wait_alu 0xfffd
	v_add_co_ci_u32_e32 v108, vcc_lo, s5, v99, vcc_lo
	v_mul_f64_e32 v[34:35], s[8:9], v[84:85]
	s_delay_alu instid0(VALU_DEP_3) | instskip(SKIP_1) | instid1(VALU_DEP_3)
	v_add_co_u32 v111, vcc_lo, v107, s0
	s_wait_alu 0xfffd
	v_add_co_ci_u32_e32 v112, vcc_lo, s1, v108, vcc_lo
	s_wait_loadcnt_dscnt 0x109
	v_mul_f64_e32 v[101:102], v[119:120], v[42:43]
	v_mul_f64_e32 v[103:104], v[119:120], v[40:41]
	scratch_load_b128 v[119:122], off, off offset:160 th:TH_LOAD_LU ; 16-byte Folded Reload
	s_clause 0x4
	global_store_b128 v[72:73], v[20:23], off
	global_store_b128 v[90:91], v[24:27], off
	;; [unrolled: 1-line block ×5, first 2 shown]
	v_mul_f64_e32 v[20:21], s[8:9], v[74:75]
	v_mul_f64_e32 v[22:23], s[8:9], v[78:79]
	;; [unrolled: 1-line block ×4, first 2 shown]
	v_add_co_u32 v94, vcc_lo, v111, s4
	s_wait_alu 0xfffd
	v_add_co_ci_u32_e32 v95, vcc_lo, s5, v112, vcc_lo
	scratch_load_b128 v[127:130], off, off offset:224 th:TH_LOAD_LU ; 16-byte Folded Reload
	s_wait_loadcnt 0x2
	v_mul_f64_e32 v[92:93], v[115:116], v[38:39]
	v_mul_f64_e32 v[96:97], v[115:116], v[36:37]
	v_fma_f64 v[40:41], v[117:118], v[40:41], v[101:102]
	v_fma_f64 v[42:43], v[117:118], v[42:43], -v[103:104]
	s_delay_alu instid0(VALU_DEP_4) | instskip(NEXT) | instid1(VALU_DEP_4)
	v_fma_f64 v[36:37], v[113:114], v[36:37], v[92:93]
	v_fma_f64 v[38:39], v[113:114], v[38:39], -v[96:97]
	v_add_co_u32 v92, vcc_lo, v94, s0
	s_wait_alu 0xfffd
	v_add_co_ci_u32_e32 v93, vcc_lo, s1, v95, vcc_lo
	s_delay_alu instid0(VALU_DEP_2) | instskip(SKIP_1) | instid1(VALU_DEP_2)
	v_add_co_u32 v96, vcc_lo, v92, s4
	s_wait_alu 0xfffd
	v_add_co_ci_u32_e32 v97, vcc_lo, s5, v93, vcc_lo
	s_wait_loadcnt_dscnt 0x108
	v_mul_f64_e32 v[105:106], v[121:122], v[46:47]
	v_mul_f64_e32 v[109:110], v[121:122], v[44:45]
	scratch_load_b128 v[121:124], off, off offset:192 th:TH_LOAD_LU ; 16-byte Folded Reload
	s_wait_loadcnt_dscnt 0x105
	v_mul_f64_e32 v[64:65], v[129:130], v[2:3]
	v_mul_f64_e32 v[66:67], v[129:130], v[0:1]
	scratch_load_b128 v[129:132], off, off offset:240 th:TH_LOAD_LU ; 16-byte Folded Reload
	v_fma_f64 v[44:45], v[119:120], v[44:45], v[105:106]
	v_fma_f64 v[46:47], v[119:120], v[46:47], -v[109:110]
	s_wait_loadcnt 0x1
	v_mul_f64_e32 v[60:61], v[123:124], v[50:51]
	v_mul_f64_e32 v[62:63], v[123:124], v[48:49]
	scratch_load_b128 v[123:126], off, off offset:208 th:TH_LOAD_LU ; 16-byte Folded Reload
	s_wait_loadcnt_dscnt 0x104
	v_mul_f64_e32 v[72:73], v[131:132], v[6:7]
	v_mul_f64_e32 v[74:75], v[131:132], v[4:5]
	scratch_load_b128 v[131:134], off, off offset:256 th:TH_LOAD_LU ; 16-byte Folded Reload
	v_fma_f64 v[48:49], v[121:122], v[48:49], v[60:61]
	v_fma_f64 v[50:51], v[121:122], v[50:51], -v[62:63]
	v_fma_f64 v[60:61], v[127:128], v[0:1], v[64:65]
	v_fma_f64 v[62:63], v[127:128], v[2:3], -v[66:67]
	v_mul_f64_e32 v[0:1], s[8:9], v[40:41]
	v_mul_f64_e32 v[2:3], s[8:9], v[42:43]
	v_add_co_u32 v64, vcc_lo, v96, s0
	s_wait_alu 0xfffd
	v_add_co_ci_u32_e32 v65, vcc_lo, s1, v97, vcc_lo
	s_delay_alu instid0(VALU_DEP_2) | instskip(SKIP_1) | instid1(VALU_DEP_2)
	v_add_co_u32 v66, vcc_lo, v64, s4
	s_wait_alu 0xfffd
	v_add_co_ci_u32_e32 v67, vcc_lo, s5, v65, vcc_lo
	s_wait_loadcnt 0x1
	v_mul_f64_e32 v[68:69], v[125:126], v[54:55]
	v_mul_f64_e32 v[70:71], v[125:126], v[52:53]
	s_wait_loadcnt_dscnt 0x3
	v_mul_f64_e32 v[76:77], v[133:134], v[10:11]
	v_mul_f64_e32 v[78:79], v[133:134], v[8:9]
	scratch_load_b128 v[133:136], off, off offset:272 th:TH_LOAD_LU ; 16-byte Folded Reload
	s_wait_loadcnt_dscnt 0x1
	v_mul_f64_e32 v[80:81], v[135:136], v[18:19]
	v_mul_f64_e32 v[82:83], v[135:136], v[16:17]
	scratch_load_b128 v[135:138], off, off offset:288 th:TH_LOAD_LU ; 16-byte Folded Reload
	s_wait_loadcnt 0x0
	v_mul_f64_e32 v[84:85], v[137:138], v[14:15]
	v_mul_f64_e32 v[86:87], v[137:138], v[12:13]
	scratch_load_b128 v[137:140], off, off offset:304 th:TH_LOAD_LU ; 16-byte Folded Reload
	global_store_b128 v[111:112], v[28:31], off
	global_store_b128 v[94:95], v[32:35], off
	;; [unrolled: 1-line block ×4, first 2 shown]
	v_fma_f64 v[20:21], v[123:124], v[52:53], v[68:69]
	v_fma_f64 v[22:23], v[123:124], v[54:55], -v[70:71]
	v_fma_f64 v[24:25], v[129:130], v[4:5], v[72:73]
	v_fma_f64 v[26:27], v[129:130], v[6:7], -v[74:75]
	;; [unrolled: 2-line block ×4, first 2 shown]
	v_mul_f64_e32 v[4:5], s[8:9], v[36:37]
	v_mul_f64_e32 v[6:7], s[8:9], v[38:39]
	;; [unrolled: 1-line block ×4, first 2 shown]
	v_add_co_u32 v44, vcc_lo, v66, s0
	v_mul_f64_e32 v[16:17], s[8:9], v[60:61]
	v_mul_f64_e32 v[18:19], s[8:9], v[62:63]
	global_store_b128 v[64:65], v[0:3], off
	s_wait_alu 0xfffd
	v_add_co_ci_u32_e32 v45, vcc_lo, s1, v67, vcc_lo
	v_add_co_u32 v46, vcc_lo, v44, s4
	s_wait_alu 0xfffd
	s_delay_alu instid0(VALU_DEP_2)
	v_add_co_ci_u32_e32 v47, vcc_lo, s5, v45, vcc_lo
	v_fma_f64 v[52:53], v[135:136], v[12:13], v[84:85]
	v_fma_f64 v[54:55], v[135:136], v[14:15], -v[86:87]
	v_mul_f64_e32 v[12:13], s[8:9], v[48:49]
	v_mul_f64_e32 v[14:15], s[8:9], v[50:51]
	;; [unrolled: 1-line block ×10, first 2 shown]
	v_add_co_u32 v48, vcc_lo, v46, s0
	global_store_b128 v[66:67], v[4:7], off
	global_store_b128 v[44:45], v[8:11], off
	s_wait_alu 0xfffd
	v_add_co_ci_u32_e32 v49, vcc_lo, s1, v47, vcc_lo
	v_add_co_u32 v0, vcc_lo, v48, s4
	s_wait_alu 0xfffd
	s_delay_alu instid0(VALU_DEP_2) | instskip(NEXT) | instid1(VALU_DEP_2)
	v_add_co_ci_u32_e32 v1, vcc_lo, s5, v49, vcc_lo
	v_add_co_u32 v2, vcc_lo, v0, s0
	s_wait_alu 0xfffd
	s_delay_alu instid0(VALU_DEP_2) | instskip(NEXT) | instid1(VALU_DEP_2)
	;; [unrolled: 4-line block ×4, first 2 shown]
	v_add_co_ci_u32_e32 v7, vcc_lo, s1, v5, vcc_lo
	v_add_co_u32 v8, vcc_lo, v6, s4
	v_mul_f64_e32 v[36:37], s[8:9], v[52:53]
	v_mul_f64_e32 v[38:39], s[8:9], v[54:55]
	s_wait_alu 0xfffd
	v_add_co_ci_u32_e32 v9, vcc_lo, s5, v7, vcc_lo
	global_store_b128 v[46:47], v[12:15], off
	global_store_b128 v[48:49], v[16:19], off
	;; [unrolled: 1-line block ×3, first 2 shown]
	v_add_co_u32 v0, vcc_lo, v8, s0
	s_wait_alu 0xfffd
	v_add_co_ci_u32_e32 v1, vcc_lo, s1, v9, vcc_lo
	s_wait_loadcnt_dscnt 0x0
	v_mul_f64_e32 v[88:89], v[139:140], v[58:59]
	v_mul_f64_e32 v[90:91], v[139:140], v[56:57]
	s_delay_alu instid0(VALU_DEP_2) | instskip(NEXT) | instid1(VALU_DEP_2)
	v_fma_f64 v[56:57], v[137:138], v[56:57], v[88:89]
	v_fma_f64 v[58:59], v[137:138], v[58:59], -v[90:91]
	s_delay_alu instid0(VALU_DEP_2) | instskip(NEXT) | instid1(VALU_DEP_2)
	v_mul_f64_e32 v[40:41], s[8:9], v[56:57]
	v_mul_f64_e32 v[42:43], s[8:9], v[58:59]
	global_store_b128 v[2:3], v[24:27], off
	global_store_b128 v[4:5], v[28:31], off
	;; [unrolled: 1-line block ×5, first 2 shown]
.LBB0_26:
	s_nop 0
	s_sendmsg sendmsg(MSG_DEALLOC_VGPRS)
	s_endpgm
	.section	.rodata,"a",@progbits
	.p2align	6, 0x0
	.amdhsa_kernel bluestein_single_fwd_len1260_dim1_dp_op_CI_CI
		.amdhsa_group_segment_fixed_size 20160
		.amdhsa_private_segment_fixed_size 984
		.amdhsa_kernarg_size 104
		.amdhsa_user_sgpr_count 2
		.amdhsa_user_sgpr_dispatch_ptr 0
		.amdhsa_user_sgpr_queue_ptr 0
		.amdhsa_user_sgpr_kernarg_segment_ptr 1
		.amdhsa_user_sgpr_dispatch_id 0
		.amdhsa_user_sgpr_private_segment_size 0
		.amdhsa_wavefront_size32 1
		.amdhsa_uses_dynamic_stack 0
		.amdhsa_enable_private_segment 1
		.amdhsa_system_sgpr_workgroup_id_x 1
		.amdhsa_system_sgpr_workgroup_id_y 0
		.amdhsa_system_sgpr_workgroup_id_z 0
		.amdhsa_system_sgpr_workgroup_info 0
		.amdhsa_system_vgpr_workitem_id 0
		.amdhsa_next_free_vgpr 256
		.amdhsa_next_free_sgpr 30
		.amdhsa_reserve_vcc 1
		.amdhsa_float_round_mode_32 0
		.amdhsa_float_round_mode_16_64 0
		.amdhsa_float_denorm_mode_32 3
		.amdhsa_float_denorm_mode_16_64 3
		.amdhsa_fp16_overflow 0
		.amdhsa_workgroup_processor_mode 1
		.amdhsa_memory_ordered 1
		.amdhsa_forward_progress 0
		.amdhsa_round_robin_scheduling 0
		.amdhsa_exception_fp_ieee_invalid_op 0
		.amdhsa_exception_fp_denorm_src 0
		.amdhsa_exception_fp_ieee_div_zero 0
		.amdhsa_exception_fp_ieee_overflow 0
		.amdhsa_exception_fp_ieee_underflow 0
		.amdhsa_exception_fp_ieee_inexact 0
		.amdhsa_exception_int_div_zero 0
	.end_amdhsa_kernel
	.text
.Lfunc_end0:
	.size	bluestein_single_fwd_len1260_dim1_dp_op_CI_CI, .Lfunc_end0-bluestein_single_fwd_len1260_dim1_dp_op_CI_CI
                                        ; -- End function
	.section	.AMDGPU.csdata,"",@progbits
; Kernel info:
; codeLenInByte = 30232
; NumSgprs: 32
; NumVgprs: 256
; ScratchSize: 984
; MemoryBound: 0
; FloatMode: 240
; IeeeMode: 1
; LDSByteSize: 20160 bytes/workgroup (compile time only)
; SGPRBlocks: 3
; VGPRBlocks: 31
; NumSGPRsForWavesPerEU: 32
; NumVGPRsForWavesPerEU: 256
; Occupancy: 3
; WaveLimiterHint : 1
; COMPUTE_PGM_RSRC2:SCRATCH_EN: 1
; COMPUTE_PGM_RSRC2:USER_SGPR: 2
; COMPUTE_PGM_RSRC2:TRAP_HANDLER: 0
; COMPUTE_PGM_RSRC2:TGID_X_EN: 1
; COMPUTE_PGM_RSRC2:TGID_Y_EN: 0
; COMPUTE_PGM_RSRC2:TGID_Z_EN: 0
; COMPUTE_PGM_RSRC2:TIDIG_COMP_CNT: 0
	.text
	.p2alignl 7, 3214868480
	.fill 96, 4, 3214868480
	.type	__hip_cuid_d23b0ffc4fe431bb,@object ; @__hip_cuid_d23b0ffc4fe431bb
	.section	.bss,"aw",@nobits
	.globl	__hip_cuid_d23b0ffc4fe431bb
__hip_cuid_d23b0ffc4fe431bb:
	.byte	0                               ; 0x0
	.size	__hip_cuid_d23b0ffc4fe431bb, 1

	.ident	"AMD clang version 19.0.0git (https://github.com/RadeonOpenCompute/llvm-project roc-6.4.0 25133 c7fe45cf4b819c5991fe208aaa96edf142730f1d)"
	.section	".note.GNU-stack","",@progbits
	.addrsig
	.addrsig_sym __hip_cuid_d23b0ffc4fe431bb
	.amdgpu_metadata
---
amdhsa.kernels:
  - .args:
      - .actual_access:  read_only
        .address_space:  global
        .offset:         0
        .size:           8
        .value_kind:     global_buffer
      - .actual_access:  read_only
        .address_space:  global
        .offset:         8
        .size:           8
        .value_kind:     global_buffer
      - .actual_access:  read_only
        .address_space:  global
        .offset:         16
        .size:           8
        .value_kind:     global_buffer
      - .actual_access:  read_only
        .address_space:  global
        .offset:         24
        .size:           8
        .value_kind:     global_buffer
      - .actual_access:  read_only
        .address_space:  global
        .offset:         32
        .size:           8
        .value_kind:     global_buffer
      - .offset:         40
        .size:           8
        .value_kind:     by_value
      - .address_space:  global
        .offset:         48
        .size:           8
        .value_kind:     global_buffer
      - .address_space:  global
        .offset:         56
        .size:           8
        .value_kind:     global_buffer
      - .address_space:  global
        .offset:         64
        .size:           8
        .value_kind:     global_buffer
      - .address_space:  global
        .offset:         72
        .size:           8
        .value_kind:     global_buffer
      - .offset:         80
        .size:           4
        .value_kind:     by_value
      - .address_space:  global
        .offset:         88
        .size:           8
        .value_kind:     global_buffer
      - .address_space:  global
        .offset:         96
        .size:           8
        .value_kind:     global_buffer
    .group_segment_fixed_size: 20160
    .kernarg_segment_align: 8
    .kernarg_segment_size: 104
    .language:       OpenCL C
    .language_version:
      - 2
      - 0
    .max_flat_workgroup_size: 63
    .name:           bluestein_single_fwd_len1260_dim1_dp_op_CI_CI
    .private_segment_fixed_size: 984
    .sgpr_count:     32
    .sgpr_spill_count: 0
    .symbol:         bluestein_single_fwd_len1260_dim1_dp_op_CI_CI.kd
    .uniform_work_group_size: 1
    .uses_dynamic_stack: false
    .vgpr_count:     256
    .vgpr_spill_count: 245
    .wavefront_size: 32
    .workgroup_processor_mode: 1
amdhsa.target:   amdgcn-amd-amdhsa--gfx1201
amdhsa.version:
  - 1
  - 2
...

	.end_amdgpu_metadata
